;; amdgpu-corpus repo=ROCm/rocSPARSE kind=compiled arch=gfx1250 opt=O3
	.amdgcn_target "amdgcn-amd-amdhsa--gfx1250"
	.amdhsa_code_object_version 6
	.section	.text._ZN9rocsparseL23check_matrix_coo_deviceILj256EfiiEEvT2_S1_lPKT0_PKT1_PKS1_21rocsparse_index_base_22rocsparse_matrix_type_20rocsparse_fill_mode_23rocsparse_storage_mode_P22rocsparse_data_status_,"axG",@progbits,_ZN9rocsparseL23check_matrix_coo_deviceILj256EfiiEEvT2_S1_lPKT0_PKT1_PKS1_21rocsparse_index_base_22rocsparse_matrix_type_20rocsparse_fill_mode_23rocsparse_storage_mode_P22rocsparse_data_status_,comdat
	.globl	_ZN9rocsparseL23check_matrix_coo_deviceILj256EfiiEEvT2_S1_lPKT0_PKT1_PKS1_21rocsparse_index_base_22rocsparse_matrix_type_20rocsparse_fill_mode_23rocsparse_storage_mode_P22rocsparse_data_status_ ; -- Begin function _ZN9rocsparseL23check_matrix_coo_deviceILj256EfiiEEvT2_S1_lPKT0_PKT1_PKS1_21rocsparse_index_base_22rocsparse_matrix_type_20rocsparse_fill_mode_23rocsparse_storage_mode_P22rocsparse_data_status_
	.p2align	8
	.type	_ZN9rocsparseL23check_matrix_coo_deviceILj256EfiiEEvT2_S1_lPKT0_PKT1_PKS1_21rocsparse_index_base_22rocsparse_matrix_type_20rocsparse_fill_mode_23rocsparse_storage_mode_P22rocsparse_data_status_,@function
_ZN9rocsparseL23check_matrix_coo_deviceILj256EfiiEEvT2_S1_lPKT0_PKT1_PKS1_21rocsparse_index_base_22rocsparse_matrix_type_20rocsparse_fill_mode_23rocsparse_storage_mode_P22rocsparse_data_status_: ; @_ZN9rocsparseL23check_matrix_coo_deviceILj256EfiiEEvT2_S1_lPKT0_PKT1_PKS1_21rocsparse_index_base_22rocsparse_matrix_type_20rocsparse_fill_mode_23rocsparse_storage_mode_P22rocsparse_data_status_
; %bb.0:
	s_load_b64 s[10:11], s[0:1], 0x8
	s_bfe_u32 s2, ttmp6, 0x4000c
	s_and_b32 s3, ttmp6, 15
	s_add_co_i32 s2, s2, 1
	s_getreg_b32 s4, hwreg(HW_REG_IB_STS2, 6, 4)
	s_mul_i32 s2, ttmp9, s2
	v_mov_b32_e32 v3, 0
	s_add_co_i32 s3, s3, s2
	s_cmp_eq_u32 s4, 0
	s_cselect_b32 s2, ttmp9, s3
	s_delay_alu instid0(SALU_CYCLE_1) | instskip(SKIP_2) | instid1(VALU_DEP_1)
	v_lshl_or_b32 v2, s2, 8, v0
	s_mov_b32 s2, exec_lo
	s_wait_kmcnt 0x0
	v_cmpx_gt_i64_e64 s[10:11], v[2:3]
	s_cbranch_execz .LBB0_24
; %bb.1:
	s_clause 0x2
	s_load_b64 s[2:3], s[0:1], 0x18
	s_load_b64 s[8:9], s[0:1], 0x0
	s_load_b128 s[4:7], s[0:1], 0x28
	v_mov_b32_e32 v8, 4
	s_wait_kmcnt 0x0
	v_lshl_add_u64 v[0:1], v[2:3], 2, s[2:3]
	global_load_b32 v6, v[0:1], off
	s_wait_loadcnt 0x0
	v_subrev_nc_u32_e32 v4, s4, v6
	s_delay_alu instid0(VALU_DEP_1) | instskip(SKIP_2) | instid1(SALU_CYCLE_1)
	v_cmp_lt_i32_e32 vcc_lo, -1, v4
	v_cmp_gt_i32_e64 s2, s8, v4
	s_and_b32 s2, vcc_lo, s2
	s_xor_b32 s8, s2, -1
	s_and_saveexec_b32 s12, s2
	s_cbranch_execz .LBB0_22
; %bb.2:
	s_load_b64 s[2:3], s[0:1], 0x20
	s_wait_kmcnt 0x0
	v_lshl_add_u64 v[4:5], v[2:3], 2, s[2:3]
	global_load_b32 v7, v[4:5], off
	s_wait_loadcnt 0x0
	v_subrev_nc_u32_e32 v8, s4, v7
	s_delay_alu instid0(VALU_DEP_1) | instskip(SKIP_3) | instid1(SALU_CYCLE_1)
	v_cmp_lt_i32_e32 vcc_lo, -1, v8
	v_cmp_gt_i32_e64 s2, s9, v8
	v_mov_b32_e32 v8, 4
	s_and_b32 s2, vcc_lo, s2
	s_xor_b32 s13, s2, -1
	s_and_saveexec_b32 s14, s2
	s_cbranch_execz .LBB0_21
; %bb.3:
	s_load_b64 s[2:3], s[0:1], 0x10
	s_mov_b32 s15, exec_lo
	s_wait_kmcnt 0x0
	v_lshl_add_u64 v[8:9], v[2:3], 2, s[2:3]
	global_load_b32 v9, v[8:9], off
	s_wait_xcnt 0x0
	v_mov_b32_e32 v8, 1
	s_wait_loadcnt 0x0
	v_cmp_eq_f32_e64 s2, 0x7f800000, v9
	v_cmpx_neq_f32_e32 0x7f800000, v9
	s_cbranch_execz .LBB0_20
; %bb.4:
	v_mov_b32_e32 v8, 2
	s_mov_b32 s3, -1
	s_mov_b32 s16, exec_lo
	v_cmpx_o_f32_e32 v9, v9
	s_cbranch_execz .LBB0_19
; %bb.5:
	s_cmp_lg_u32 s5, 0
	s_mov_b32 s18, 0
	s_cbranch_scc0 .LBB0_8
; %bb.6:
	s_cmp_lg_u32 s6, 0
	s_mov_b32 s3, 0
	s_cbranch_scc0 .LBB0_9
; %bb.7:
	v_cmp_le_i32_e32 vcc_lo, v6, v7
	s_mov_b32 s5, -1
	s_mov_b32 s6, 7
	s_and_b32 s18, vcc_lo, exec_lo
	s_branch .LBB0_10
.LBB0_8:
	s_mov_b32 s18, -1
	s_mov_b32 s5, 0
	s_mov_b32 s6, 2
	s_branch .LBB0_12
.LBB0_9:
	s_mov_b32 s3, -1
	s_mov_b32 s6, 2
	s_mov_b32 s5, 0
.LBB0_10:
	s_and_not1_b32 vcc_lo, exec_lo, s3
	s_cbranch_vccnz .LBB0_12
; %bb.11:
	v_cmp_lt_i32_e32 vcc_lo, v6, v7
	v_cmp_ge_i32_e64 s3, v6, v7
	s_and_not1_b32 s5, s5, exec_lo
	s_and_not1_b32 s17, s18, exec_lo
	s_mov_b32 s6, 7
	s_and_b32 s18, vcc_lo, exec_lo
	s_and_b32 s3, s3, exec_lo
	s_or_b32 s5, s5, s18
	s_or_b32 s18, s17, s3
.LBB0_12:
	v_mov_b32_e32 v8, s6
	s_and_saveexec_b32 s17, s18
	s_cbranch_execz .LBB0_18
; %bb.13:
	s_add_nc_u64 s[10:11], s[10:11], -1
	s_cmp_eq_u32 s7, 0
	v_cmp_gt_u64_e32 vcc_lo, s[10:11], v[2:3]
	v_mov_b32_e32 v8, s6
	s_cselect_b32 s7, -1, 0
	s_mov_b32 s3, 0
	s_and_b32 s10, s7, vcc_lo
	s_delay_alu instid0(SALU_CYCLE_1)
	s_and_saveexec_b32 s7, s10
	s_cbranch_execz .LBB0_17
; %bb.14:
	global_load_b32 v0, v[0:1], off offset:4
	v_mov_b32_e32 v8, s6
	s_mov_b32 s6, exec_lo
	s_wait_loadcnt 0x0
	v_cmpx_eq_u32_e64 v6, v0
	s_cbranch_execz .LBB0_16
; %bb.15:
	global_load_b32 v0, v[4:5], off offset:4
	v_mov_b32_e32 v8, 6
	s_wait_loadcnt 0x0
	v_subrev_nc_u32_e32 v1, s4, v0
	v_cmp_gt_i32_e64 s4, v7, v0
	s_delay_alu instid0(VALU_DEP_2) | instskip(SKIP_2) | instid1(SALU_CYCLE_1)
	v_cmp_lt_i32_e32 vcc_lo, -1, v1
	v_cmp_gt_i32_e64 s3, s9, v1
	s_and_b32 s3, vcc_lo, s3
	s_and_b32 s3, s4, s3
	s_delay_alu instid0(SALU_CYCLE_1)
	s_and_b32 s3, s3, exec_lo
.LBB0_16:
	s_or_b32 exec_lo, exec_lo, s6
	s_delay_alu instid0(SALU_CYCLE_1)
	s_and_b32 s3, s3, exec_lo
.LBB0_17:
	s_or_b32 exec_lo, exec_lo, s7
	s_delay_alu instid0(SALU_CYCLE_1) | instskip(SKIP_1) | instid1(SALU_CYCLE_1)
	s_and_not1_b32 s4, s5, exec_lo
	s_and_b32 s3, s3, exec_lo
	s_or_b32 s5, s4, s3
.LBB0_18:
	s_or_b32 exec_lo, exec_lo, s17
	s_delay_alu instid0(SALU_CYCLE_1)
	s_or_not1_b32 s3, s5, exec_lo
.LBB0_19:
	s_or_b32 exec_lo, exec_lo, s16
	s_delay_alu instid0(SALU_CYCLE_1) | instskip(SKIP_1) | instid1(SALU_CYCLE_1)
	s_and_not1_b32 s2, s2, exec_lo
	s_and_b32 s3, s3, exec_lo
	s_or_b32 s2, s2, s3
.LBB0_20:
	s_or_b32 exec_lo, exec_lo, s15
	s_delay_alu instid0(SALU_CYCLE_1) | instskip(SKIP_1) | instid1(SALU_CYCLE_1)
	s_and_not1_b32 s3, s13, exec_lo
	s_and_b32 s2, s2, exec_lo
	s_or_b32 s13, s3, s2
.LBB0_21:
	s_or_b32 exec_lo, exec_lo, s14
	s_delay_alu instid0(SALU_CYCLE_1) | instskip(SKIP_1) | instid1(SALU_CYCLE_1)
	s_and_not1_b32 s2, s8, exec_lo
	s_and_b32 s3, s13, exec_lo
	s_or_b32 s8, s2, s3
.LBB0_22:
	s_or_b32 exec_lo, exec_lo, s12
	s_delay_alu instid0(SALU_CYCLE_1)
	s_and_b32 exec_lo, exec_lo, s8
	s_cbranch_execz .LBB0_24
; %bb.23:
	s_load_b64 s[0:1], s[0:1], 0x38
	v_mov_b32_e32 v0, 0
	s_wait_kmcnt 0x0
	global_store_b32 v0, v8, s[0:1]
.LBB0_24:
	s_endpgm
	.section	.rodata,"a",@progbits
	.p2align	6, 0x0
	.amdhsa_kernel _ZN9rocsparseL23check_matrix_coo_deviceILj256EfiiEEvT2_S1_lPKT0_PKT1_PKS1_21rocsparse_index_base_22rocsparse_matrix_type_20rocsparse_fill_mode_23rocsparse_storage_mode_P22rocsparse_data_status_
		.amdhsa_group_segment_fixed_size 0
		.amdhsa_private_segment_fixed_size 0
		.amdhsa_kernarg_size 64
		.amdhsa_user_sgpr_count 2
		.amdhsa_user_sgpr_dispatch_ptr 0
		.amdhsa_user_sgpr_queue_ptr 0
		.amdhsa_user_sgpr_kernarg_segment_ptr 1
		.amdhsa_user_sgpr_dispatch_id 0
		.amdhsa_user_sgpr_kernarg_preload_length 0
		.amdhsa_user_sgpr_kernarg_preload_offset 0
		.amdhsa_user_sgpr_private_segment_size 0
		.amdhsa_wavefront_size32 1
		.amdhsa_uses_dynamic_stack 0
		.amdhsa_enable_private_segment 0
		.amdhsa_system_sgpr_workgroup_id_x 1
		.amdhsa_system_sgpr_workgroup_id_y 0
		.amdhsa_system_sgpr_workgroup_id_z 0
		.amdhsa_system_sgpr_workgroup_info 0
		.amdhsa_system_vgpr_workitem_id 0
		.amdhsa_next_free_vgpr 10
		.amdhsa_next_free_sgpr 19
		.amdhsa_named_barrier_count 0
		.amdhsa_reserve_vcc 1
		.amdhsa_float_round_mode_32 0
		.amdhsa_float_round_mode_16_64 0
		.amdhsa_float_denorm_mode_32 3
		.amdhsa_float_denorm_mode_16_64 3
		.amdhsa_fp16_overflow 0
		.amdhsa_memory_ordered 1
		.amdhsa_forward_progress 1
		.amdhsa_inst_pref_size 6
		.amdhsa_round_robin_scheduling 0
		.amdhsa_exception_fp_ieee_invalid_op 0
		.amdhsa_exception_fp_denorm_src 0
		.amdhsa_exception_fp_ieee_div_zero 0
		.amdhsa_exception_fp_ieee_overflow 0
		.amdhsa_exception_fp_ieee_underflow 0
		.amdhsa_exception_fp_ieee_inexact 0
		.amdhsa_exception_int_div_zero 0
	.end_amdhsa_kernel
	.section	.text._ZN9rocsparseL23check_matrix_coo_deviceILj256EfiiEEvT2_S1_lPKT0_PKT1_PKS1_21rocsparse_index_base_22rocsparse_matrix_type_20rocsparse_fill_mode_23rocsparse_storage_mode_P22rocsparse_data_status_,"axG",@progbits,_ZN9rocsparseL23check_matrix_coo_deviceILj256EfiiEEvT2_S1_lPKT0_PKT1_PKS1_21rocsparse_index_base_22rocsparse_matrix_type_20rocsparse_fill_mode_23rocsparse_storage_mode_P22rocsparse_data_status_,comdat
.Lfunc_end0:
	.size	_ZN9rocsparseL23check_matrix_coo_deviceILj256EfiiEEvT2_S1_lPKT0_PKT1_PKS1_21rocsparse_index_base_22rocsparse_matrix_type_20rocsparse_fill_mode_23rocsparse_storage_mode_P22rocsparse_data_status_, .Lfunc_end0-_ZN9rocsparseL23check_matrix_coo_deviceILj256EfiiEEvT2_S1_lPKT0_PKT1_PKS1_21rocsparse_index_base_22rocsparse_matrix_type_20rocsparse_fill_mode_23rocsparse_storage_mode_P22rocsparse_data_status_
                                        ; -- End function
	.set _ZN9rocsparseL23check_matrix_coo_deviceILj256EfiiEEvT2_S1_lPKT0_PKT1_PKS1_21rocsparse_index_base_22rocsparse_matrix_type_20rocsparse_fill_mode_23rocsparse_storage_mode_P22rocsparse_data_status_.num_vgpr, 10
	.set _ZN9rocsparseL23check_matrix_coo_deviceILj256EfiiEEvT2_S1_lPKT0_PKT1_PKS1_21rocsparse_index_base_22rocsparse_matrix_type_20rocsparse_fill_mode_23rocsparse_storage_mode_P22rocsparse_data_status_.num_agpr, 0
	.set _ZN9rocsparseL23check_matrix_coo_deviceILj256EfiiEEvT2_S1_lPKT0_PKT1_PKS1_21rocsparse_index_base_22rocsparse_matrix_type_20rocsparse_fill_mode_23rocsparse_storage_mode_P22rocsparse_data_status_.numbered_sgpr, 19
	.set _ZN9rocsparseL23check_matrix_coo_deviceILj256EfiiEEvT2_S1_lPKT0_PKT1_PKS1_21rocsparse_index_base_22rocsparse_matrix_type_20rocsparse_fill_mode_23rocsparse_storage_mode_P22rocsparse_data_status_.num_named_barrier, 0
	.set _ZN9rocsparseL23check_matrix_coo_deviceILj256EfiiEEvT2_S1_lPKT0_PKT1_PKS1_21rocsparse_index_base_22rocsparse_matrix_type_20rocsparse_fill_mode_23rocsparse_storage_mode_P22rocsparse_data_status_.private_seg_size, 0
	.set _ZN9rocsparseL23check_matrix_coo_deviceILj256EfiiEEvT2_S1_lPKT0_PKT1_PKS1_21rocsparse_index_base_22rocsparse_matrix_type_20rocsparse_fill_mode_23rocsparse_storage_mode_P22rocsparse_data_status_.uses_vcc, 1
	.set _ZN9rocsparseL23check_matrix_coo_deviceILj256EfiiEEvT2_S1_lPKT0_PKT1_PKS1_21rocsparse_index_base_22rocsparse_matrix_type_20rocsparse_fill_mode_23rocsparse_storage_mode_P22rocsparse_data_status_.uses_flat_scratch, 0
	.set _ZN9rocsparseL23check_matrix_coo_deviceILj256EfiiEEvT2_S1_lPKT0_PKT1_PKS1_21rocsparse_index_base_22rocsparse_matrix_type_20rocsparse_fill_mode_23rocsparse_storage_mode_P22rocsparse_data_status_.has_dyn_sized_stack, 0
	.set _ZN9rocsparseL23check_matrix_coo_deviceILj256EfiiEEvT2_S1_lPKT0_PKT1_PKS1_21rocsparse_index_base_22rocsparse_matrix_type_20rocsparse_fill_mode_23rocsparse_storage_mode_P22rocsparse_data_status_.has_recursion, 0
	.set _ZN9rocsparseL23check_matrix_coo_deviceILj256EfiiEEvT2_S1_lPKT0_PKT1_PKS1_21rocsparse_index_base_22rocsparse_matrix_type_20rocsparse_fill_mode_23rocsparse_storage_mode_P22rocsparse_data_status_.has_indirect_call, 0
	.section	.AMDGPU.csdata,"",@progbits
; Kernel info:
; codeLenInByte = 768
; TotalNumSgprs: 21
; NumVgprs: 10
; ScratchSize: 0
; MemoryBound: 0
; FloatMode: 240
; IeeeMode: 1
; LDSByteSize: 0 bytes/workgroup (compile time only)
; SGPRBlocks: 0
; VGPRBlocks: 0
; NumSGPRsForWavesPerEU: 21
; NumVGPRsForWavesPerEU: 10
; NamedBarCnt: 0
; Occupancy: 16
; WaveLimiterHint : 0
; COMPUTE_PGM_RSRC2:SCRATCH_EN: 0
; COMPUTE_PGM_RSRC2:USER_SGPR: 2
; COMPUTE_PGM_RSRC2:TRAP_HANDLER: 0
; COMPUTE_PGM_RSRC2:TGID_X_EN: 1
; COMPUTE_PGM_RSRC2:TGID_Y_EN: 0
; COMPUTE_PGM_RSRC2:TGID_Z_EN: 0
; COMPUTE_PGM_RSRC2:TIDIG_COMP_CNT: 0
	.section	.text._ZN9rocsparseL23check_matrix_coo_deviceILj256EdiiEEvT2_S1_lPKT0_PKT1_PKS1_21rocsparse_index_base_22rocsparse_matrix_type_20rocsparse_fill_mode_23rocsparse_storage_mode_P22rocsparse_data_status_,"axG",@progbits,_ZN9rocsparseL23check_matrix_coo_deviceILj256EdiiEEvT2_S1_lPKT0_PKT1_PKS1_21rocsparse_index_base_22rocsparse_matrix_type_20rocsparse_fill_mode_23rocsparse_storage_mode_P22rocsparse_data_status_,comdat
	.globl	_ZN9rocsparseL23check_matrix_coo_deviceILj256EdiiEEvT2_S1_lPKT0_PKT1_PKS1_21rocsparse_index_base_22rocsparse_matrix_type_20rocsparse_fill_mode_23rocsparse_storage_mode_P22rocsparse_data_status_ ; -- Begin function _ZN9rocsparseL23check_matrix_coo_deviceILj256EdiiEEvT2_S1_lPKT0_PKT1_PKS1_21rocsparse_index_base_22rocsparse_matrix_type_20rocsparse_fill_mode_23rocsparse_storage_mode_P22rocsparse_data_status_
	.p2align	8
	.type	_ZN9rocsparseL23check_matrix_coo_deviceILj256EdiiEEvT2_S1_lPKT0_PKT1_PKS1_21rocsparse_index_base_22rocsparse_matrix_type_20rocsparse_fill_mode_23rocsparse_storage_mode_P22rocsparse_data_status_,@function
_ZN9rocsparseL23check_matrix_coo_deviceILj256EdiiEEvT2_S1_lPKT0_PKT1_PKS1_21rocsparse_index_base_22rocsparse_matrix_type_20rocsparse_fill_mode_23rocsparse_storage_mode_P22rocsparse_data_status_: ; @_ZN9rocsparseL23check_matrix_coo_deviceILj256EdiiEEvT2_S1_lPKT0_PKT1_PKS1_21rocsparse_index_base_22rocsparse_matrix_type_20rocsparse_fill_mode_23rocsparse_storage_mode_P22rocsparse_data_status_
; %bb.0:
	s_load_b64 s[10:11], s[0:1], 0x8
	s_bfe_u32 s2, ttmp6, 0x4000c
	s_and_b32 s3, ttmp6, 15
	s_add_co_i32 s2, s2, 1
	s_getreg_b32 s4, hwreg(HW_REG_IB_STS2, 6, 4)
	s_mul_i32 s2, ttmp9, s2
	v_mov_b32_e32 v3, 0
	s_add_co_i32 s3, s3, s2
	s_cmp_eq_u32 s4, 0
	s_cselect_b32 s2, ttmp9, s3
	s_delay_alu instid0(SALU_CYCLE_1) | instskip(SKIP_2) | instid1(VALU_DEP_1)
	v_lshl_or_b32 v2, s2, 8, v0
	s_mov_b32 s2, exec_lo
	s_wait_kmcnt 0x0
	v_cmpx_gt_i64_e64 s[10:11], v[2:3]
	s_cbranch_execz .LBB1_24
; %bb.1:
	s_clause 0x2
	s_load_b64 s[2:3], s[0:1], 0x18
	s_load_b64 s[8:9], s[0:1], 0x0
	s_load_b128 s[4:7], s[0:1], 0x28
	v_mov_b32_e32 v10, 4
	s_wait_kmcnt 0x0
	v_lshl_add_u64 v[0:1], v[2:3], 2, s[2:3]
	global_load_b32 v8, v[0:1], off
	s_wait_loadcnt 0x0
	v_subrev_nc_u32_e32 v4, s4, v8
	s_delay_alu instid0(VALU_DEP_1) | instskip(SKIP_2) | instid1(SALU_CYCLE_1)
	v_cmp_lt_i32_e32 vcc_lo, -1, v4
	v_cmp_gt_i32_e64 s2, s8, v4
	s_and_b32 s2, vcc_lo, s2
	s_xor_b32 s8, s2, -1
	s_and_saveexec_b32 s12, s2
	s_cbranch_execz .LBB1_22
; %bb.2:
	s_load_b64 s[2:3], s[0:1], 0x20
	v_mov_b32_e32 v10, 4
	s_wait_kmcnt 0x0
	v_lshl_add_u64 v[4:5], v[2:3], 2, s[2:3]
	global_load_b32 v9, v[4:5], off
	s_wait_loadcnt 0x0
	v_subrev_nc_u32_e32 v6, s4, v9
	s_delay_alu instid0(VALU_DEP_1) | instskip(SKIP_2) | instid1(SALU_CYCLE_1)
	v_cmp_lt_i32_e32 vcc_lo, -1, v6
	v_cmp_gt_i32_e64 s2, s9, v6
	s_and_b32 s2, vcc_lo, s2
	s_xor_b32 s13, s2, -1
	s_and_saveexec_b32 s14, s2
	s_cbranch_execz .LBB1_21
; %bb.3:
	s_load_b64 s[2:3], s[0:1], 0x10
	v_mov_b32_e32 v10, 1
	s_mov_b32 s15, exec_lo
	s_wait_kmcnt 0x0
	v_lshl_add_u64 v[6:7], v[2:3], 3, s[2:3]
	global_load_b64 v[6:7], v[6:7], off
	s_wait_loadcnt 0x0
	v_cmp_eq_f64_e64 s2, 0x7ff00000, v[6:7]
	v_cmpx_neq_f64_e32 0x7ff00000, v[6:7]
	s_cbranch_execz .LBB1_20
; %bb.4:
	v_mov_b32_e32 v10, 2
	s_mov_b32 s3, -1
	s_mov_b32 s16, exec_lo
	v_cmpx_o_f64_e32 v[6:7], v[6:7]
	s_cbranch_execz .LBB1_19
; %bb.5:
	s_cmp_lg_u32 s5, 0
	s_mov_b32 s18, 0
	s_cbranch_scc0 .LBB1_8
; %bb.6:
	s_cmp_lg_u32 s6, 0
	s_mov_b32 s3, 0
	s_cbranch_scc0 .LBB1_9
; %bb.7:
	v_cmp_le_i32_e32 vcc_lo, v8, v9
	s_mov_b32 s5, -1
	s_mov_b32 s6, 7
	s_and_b32 s18, vcc_lo, exec_lo
	s_branch .LBB1_10
.LBB1_8:
	s_mov_b32 s18, -1
	s_mov_b32 s5, 0
	s_mov_b32 s6, 2
	s_branch .LBB1_12
.LBB1_9:
	s_mov_b32 s3, -1
	s_mov_b32 s6, 2
	s_mov_b32 s5, 0
.LBB1_10:
	s_and_not1_b32 vcc_lo, exec_lo, s3
	s_cbranch_vccnz .LBB1_12
; %bb.11:
	v_cmp_lt_i32_e32 vcc_lo, v8, v9
	v_cmp_ge_i32_e64 s3, v8, v9
	s_and_not1_b32 s5, s5, exec_lo
	s_and_not1_b32 s17, s18, exec_lo
	s_mov_b32 s6, 7
	s_and_b32 s18, vcc_lo, exec_lo
	s_and_b32 s3, s3, exec_lo
	s_or_b32 s5, s5, s18
	s_or_b32 s18, s17, s3
.LBB1_12:
	v_mov_b32_e32 v10, s6
	s_and_saveexec_b32 s17, s18
	s_cbranch_execz .LBB1_18
; %bb.13:
	s_add_nc_u64 s[10:11], s[10:11], -1
	s_cmp_eq_u32 s7, 0
	v_cmp_gt_u64_e32 vcc_lo, s[10:11], v[2:3]
	v_mov_b32_e32 v10, s6
	s_cselect_b32 s7, -1, 0
	s_mov_b32 s3, 0
	s_and_b32 s10, s7, vcc_lo
	s_delay_alu instid0(SALU_CYCLE_1)
	s_and_saveexec_b32 s7, s10
	s_cbranch_execz .LBB1_17
; %bb.14:
	global_load_b32 v0, v[0:1], off offset:4
	v_mov_b32_e32 v10, s6
	s_mov_b32 s6, exec_lo
	s_wait_loadcnt 0x0
	v_cmpx_eq_u32_e64 v8, v0
	s_cbranch_execz .LBB1_16
; %bb.15:
	global_load_b32 v0, v[4:5], off offset:4
	v_mov_b32_e32 v10, 6
	s_wait_loadcnt 0x0
	v_subrev_nc_u32_e32 v1, s4, v0
	v_cmp_gt_i32_e64 s4, v9, v0
	s_delay_alu instid0(VALU_DEP_2) | instskip(SKIP_2) | instid1(SALU_CYCLE_1)
	v_cmp_lt_i32_e32 vcc_lo, -1, v1
	v_cmp_gt_i32_e64 s3, s9, v1
	s_and_b32 s3, vcc_lo, s3
	s_and_b32 s3, s4, s3
	s_delay_alu instid0(SALU_CYCLE_1)
	s_and_b32 s3, s3, exec_lo
.LBB1_16:
	s_or_b32 exec_lo, exec_lo, s6
	s_delay_alu instid0(SALU_CYCLE_1)
	s_and_b32 s3, s3, exec_lo
.LBB1_17:
	s_or_b32 exec_lo, exec_lo, s7
	s_delay_alu instid0(SALU_CYCLE_1) | instskip(SKIP_1) | instid1(SALU_CYCLE_1)
	s_and_not1_b32 s4, s5, exec_lo
	s_and_b32 s3, s3, exec_lo
	s_or_b32 s5, s4, s3
.LBB1_18:
	s_or_b32 exec_lo, exec_lo, s17
	s_delay_alu instid0(SALU_CYCLE_1)
	s_or_not1_b32 s3, s5, exec_lo
.LBB1_19:
	s_or_b32 exec_lo, exec_lo, s16
	s_delay_alu instid0(SALU_CYCLE_1) | instskip(SKIP_1) | instid1(SALU_CYCLE_1)
	s_and_not1_b32 s2, s2, exec_lo
	s_and_b32 s3, s3, exec_lo
	s_or_b32 s2, s2, s3
.LBB1_20:
	s_or_b32 exec_lo, exec_lo, s15
	s_delay_alu instid0(SALU_CYCLE_1) | instskip(SKIP_1) | instid1(SALU_CYCLE_1)
	s_and_not1_b32 s3, s13, exec_lo
	s_and_b32 s2, s2, exec_lo
	s_or_b32 s13, s3, s2
.LBB1_21:
	s_or_b32 exec_lo, exec_lo, s14
	s_delay_alu instid0(SALU_CYCLE_1) | instskip(SKIP_1) | instid1(SALU_CYCLE_1)
	s_and_not1_b32 s2, s8, exec_lo
	s_and_b32 s3, s13, exec_lo
	s_or_b32 s8, s2, s3
.LBB1_22:
	s_or_b32 exec_lo, exec_lo, s12
	s_delay_alu instid0(SALU_CYCLE_1)
	s_and_b32 exec_lo, exec_lo, s8
	s_cbranch_execz .LBB1_24
; %bb.23:
	s_load_b64 s[0:1], s[0:1], 0x38
	v_mov_b32_e32 v0, 0
	s_wait_kmcnt 0x0
	global_store_b32 v0, v10, s[0:1]
.LBB1_24:
	s_endpgm
	.section	.rodata,"a",@progbits
	.p2align	6, 0x0
	.amdhsa_kernel _ZN9rocsparseL23check_matrix_coo_deviceILj256EdiiEEvT2_S1_lPKT0_PKT1_PKS1_21rocsparse_index_base_22rocsparse_matrix_type_20rocsparse_fill_mode_23rocsparse_storage_mode_P22rocsparse_data_status_
		.amdhsa_group_segment_fixed_size 0
		.amdhsa_private_segment_fixed_size 0
		.amdhsa_kernarg_size 64
		.amdhsa_user_sgpr_count 2
		.amdhsa_user_sgpr_dispatch_ptr 0
		.amdhsa_user_sgpr_queue_ptr 0
		.amdhsa_user_sgpr_kernarg_segment_ptr 1
		.amdhsa_user_sgpr_dispatch_id 0
		.amdhsa_user_sgpr_kernarg_preload_length 0
		.amdhsa_user_sgpr_kernarg_preload_offset 0
		.amdhsa_user_sgpr_private_segment_size 0
		.amdhsa_wavefront_size32 1
		.amdhsa_uses_dynamic_stack 0
		.amdhsa_enable_private_segment 0
		.amdhsa_system_sgpr_workgroup_id_x 1
		.amdhsa_system_sgpr_workgroup_id_y 0
		.amdhsa_system_sgpr_workgroup_id_z 0
		.amdhsa_system_sgpr_workgroup_info 0
		.amdhsa_system_vgpr_workitem_id 0
		.amdhsa_next_free_vgpr 11
		.amdhsa_next_free_sgpr 19
		.amdhsa_named_barrier_count 0
		.amdhsa_reserve_vcc 1
		.amdhsa_float_round_mode_32 0
		.amdhsa_float_round_mode_16_64 0
		.amdhsa_float_denorm_mode_32 3
		.amdhsa_float_denorm_mode_16_64 3
		.amdhsa_fp16_overflow 0
		.amdhsa_memory_ordered 1
		.amdhsa_forward_progress 1
		.amdhsa_inst_pref_size 6
		.amdhsa_round_robin_scheduling 0
		.amdhsa_exception_fp_ieee_invalid_op 0
		.amdhsa_exception_fp_denorm_src 0
		.amdhsa_exception_fp_ieee_div_zero 0
		.amdhsa_exception_fp_ieee_overflow 0
		.amdhsa_exception_fp_ieee_underflow 0
		.amdhsa_exception_fp_ieee_inexact 0
		.amdhsa_exception_int_div_zero 0
	.end_amdhsa_kernel
	.section	.text._ZN9rocsparseL23check_matrix_coo_deviceILj256EdiiEEvT2_S1_lPKT0_PKT1_PKS1_21rocsparse_index_base_22rocsparse_matrix_type_20rocsparse_fill_mode_23rocsparse_storage_mode_P22rocsparse_data_status_,"axG",@progbits,_ZN9rocsparseL23check_matrix_coo_deviceILj256EdiiEEvT2_S1_lPKT0_PKT1_PKS1_21rocsparse_index_base_22rocsparse_matrix_type_20rocsparse_fill_mode_23rocsparse_storage_mode_P22rocsparse_data_status_,comdat
.Lfunc_end1:
	.size	_ZN9rocsparseL23check_matrix_coo_deviceILj256EdiiEEvT2_S1_lPKT0_PKT1_PKS1_21rocsparse_index_base_22rocsparse_matrix_type_20rocsparse_fill_mode_23rocsparse_storage_mode_P22rocsparse_data_status_, .Lfunc_end1-_ZN9rocsparseL23check_matrix_coo_deviceILj256EdiiEEvT2_S1_lPKT0_PKT1_PKS1_21rocsparse_index_base_22rocsparse_matrix_type_20rocsparse_fill_mode_23rocsparse_storage_mode_P22rocsparse_data_status_
                                        ; -- End function
	.set _ZN9rocsparseL23check_matrix_coo_deviceILj256EdiiEEvT2_S1_lPKT0_PKT1_PKS1_21rocsparse_index_base_22rocsparse_matrix_type_20rocsparse_fill_mode_23rocsparse_storage_mode_P22rocsparse_data_status_.num_vgpr, 11
	.set _ZN9rocsparseL23check_matrix_coo_deviceILj256EdiiEEvT2_S1_lPKT0_PKT1_PKS1_21rocsparse_index_base_22rocsparse_matrix_type_20rocsparse_fill_mode_23rocsparse_storage_mode_P22rocsparse_data_status_.num_agpr, 0
	.set _ZN9rocsparseL23check_matrix_coo_deviceILj256EdiiEEvT2_S1_lPKT0_PKT1_PKS1_21rocsparse_index_base_22rocsparse_matrix_type_20rocsparse_fill_mode_23rocsparse_storage_mode_P22rocsparse_data_status_.numbered_sgpr, 19
	.set _ZN9rocsparseL23check_matrix_coo_deviceILj256EdiiEEvT2_S1_lPKT0_PKT1_PKS1_21rocsparse_index_base_22rocsparse_matrix_type_20rocsparse_fill_mode_23rocsparse_storage_mode_P22rocsparse_data_status_.num_named_barrier, 0
	.set _ZN9rocsparseL23check_matrix_coo_deviceILj256EdiiEEvT2_S1_lPKT0_PKT1_PKS1_21rocsparse_index_base_22rocsparse_matrix_type_20rocsparse_fill_mode_23rocsparse_storage_mode_P22rocsparse_data_status_.private_seg_size, 0
	.set _ZN9rocsparseL23check_matrix_coo_deviceILj256EdiiEEvT2_S1_lPKT0_PKT1_PKS1_21rocsparse_index_base_22rocsparse_matrix_type_20rocsparse_fill_mode_23rocsparse_storage_mode_P22rocsparse_data_status_.uses_vcc, 1
	.set _ZN9rocsparseL23check_matrix_coo_deviceILj256EdiiEEvT2_S1_lPKT0_PKT1_PKS1_21rocsparse_index_base_22rocsparse_matrix_type_20rocsparse_fill_mode_23rocsparse_storage_mode_P22rocsparse_data_status_.uses_flat_scratch, 0
	.set _ZN9rocsparseL23check_matrix_coo_deviceILj256EdiiEEvT2_S1_lPKT0_PKT1_PKS1_21rocsparse_index_base_22rocsparse_matrix_type_20rocsparse_fill_mode_23rocsparse_storage_mode_P22rocsparse_data_status_.has_dyn_sized_stack, 0
	.set _ZN9rocsparseL23check_matrix_coo_deviceILj256EdiiEEvT2_S1_lPKT0_PKT1_PKS1_21rocsparse_index_base_22rocsparse_matrix_type_20rocsparse_fill_mode_23rocsparse_storage_mode_P22rocsparse_data_status_.has_recursion, 0
	.set _ZN9rocsparseL23check_matrix_coo_deviceILj256EdiiEEvT2_S1_lPKT0_PKT1_PKS1_21rocsparse_index_base_22rocsparse_matrix_type_20rocsparse_fill_mode_23rocsparse_storage_mode_P22rocsparse_data_status_.has_indirect_call, 0
	.section	.AMDGPU.csdata,"",@progbits
; Kernel info:
; codeLenInByte = 764
; TotalNumSgprs: 21
; NumVgprs: 11
; ScratchSize: 0
; MemoryBound: 0
; FloatMode: 240
; IeeeMode: 1
; LDSByteSize: 0 bytes/workgroup (compile time only)
; SGPRBlocks: 0
; VGPRBlocks: 0
; NumSGPRsForWavesPerEU: 21
; NumVGPRsForWavesPerEU: 11
; NamedBarCnt: 0
; Occupancy: 16
; WaveLimiterHint : 0
; COMPUTE_PGM_RSRC2:SCRATCH_EN: 0
; COMPUTE_PGM_RSRC2:USER_SGPR: 2
; COMPUTE_PGM_RSRC2:TRAP_HANDLER: 0
; COMPUTE_PGM_RSRC2:TGID_X_EN: 1
; COMPUTE_PGM_RSRC2:TGID_Y_EN: 0
; COMPUTE_PGM_RSRC2:TGID_Z_EN: 0
; COMPUTE_PGM_RSRC2:TIDIG_COMP_CNT: 0
	.section	.text._ZN9rocsparseL23check_matrix_coo_deviceILj256E21rocsparse_complex_numIfEiiEEvT2_S3_lPKT0_PKT1_PKS3_21rocsparse_index_base_22rocsparse_matrix_type_20rocsparse_fill_mode_23rocsparse_storage_mode_P22rocsparse_data_status_,"axG",@progbits,_ZN9rocsparseL23check_matrix_coo_deviceILj256E21rocsparse_complex_numIfEiiEEvT2_S3_lPKT0_PKT1_PKS3_21rocsparse_index_base_22rocsparse_matrix_type_20rocsparse_fill_mode_23rocsparse_storage_mode_P22rocsparse_data_status_,comdat
	.globl	_ZN9rocsparseL23check_matrix_coo_deviceILj256E21rocsparse_complex_numIfEiiEEvT2_S3_lPKT0_PKT1_PKS3_21rocsparse_index_base_22rocsparse_matrix_type_20rocsparse_fill_mode_23rocsparse_storage_mode_P22rocsparse_data_status_ ; -- Begin function _ZN9rocsparseL23check_matrix_coo_deviceILj256E21rocsparse_complex_numIfEiiEEvT2_S3_lPKT0_PKT1_PKS3_21rocsparse_index_base_22rocsparse_matrix_type_20rocsparse_fill_mode_23rocsparse_storage_mode_P22rocsparse_data_status_
	.p2align	8
	.type	_ZN9rocsparseL23check_matrix_coo_deviceILj256E21rocsparse_complex_numIfEiiEEvT2_S3_lPKT0_PKT1_PKS3_21rocsparse_index_base_22rocsparse_matrix_type_20rocsparse_fill_mode_23rocsparse_storage_mode_P22rocsparse_data_status_,@function
_ZN9rocsparseL23check_matrix_coo_deviceILj256E21rocsparse_complex_numIfEiiEEvT2_S3_lPKT0_PKT1_PKS3_21rocsparse_index_base_22rocsparse_matrix_type_20rocsparse_fill_mode_23rocsparse_storage_mode_P22rocsparse_data_status_: ; @_ZN9rocsparseL23check_matrix_coo_deviceILj256E21rocsparse_complex_numIfEiiEEvT2_S3_lPKT0_PKT1_PKS3_21rocsparse_index_base_22rocsparse_matrix_type_20rocsparse_fill_mode_23rocsparse_storage_mode_P22rocsparse_data_status_
; %bb.0:
	s_load_b64 s[8:9], s[0:1], 0x8
	s_bfe_u32 s2, ttmp6, 0x4000c
	s_and_b32 s3, ttmp6, 15
	s_add_co_i32 s2, s2, 1
	s_getreg_b32 s4, hwreg(HW_REG_IB_STS2, 6, 4)
	s_mul_i32 s2, ttmp9, s2
	v_mov_b32_e32 v3, 0
	s_add_co_i32 s3, s3, s2
	s_cmp_eq_u32 s4, 0
	s_cselect_b32 s2, ttmp9, s3
	s_delay_alu instid0(SALU_CYCLE_1) | instskip(SKIP_2) | instid1(VALU_DEP_1)
	v_lshl_or_b32 v2, s2, 8, v0
	s_mov_b32 s2, exec_lo
	s_wait_kmcnt 0x0
	v_cmpx_gt_i64_e64 s[8:9], v[2:3]
	s_cbranch_execz .LBB2_24
; %bb.1:
	s_clause 0x1
	s_load_b64 s[4:5], s[0:1], 0x18
	s_load_b64 s[2:3], s[0:1], 0x0
	v_mov_b32_e32 v10, 4
	s_wait_kmcnt 0x0
	v_lshl_add_u64 v[0:1], v[2:3], 2, s[4:5]
	s_load_b128 s[4:7], s[0:1], 0x28
	global_load_b32 v8, v[0:1], off
	s_wait_loadcnt 0x0
	s_wait_kmcnt 0x0
	v_subrev_nc_u32_e32 v4, s4, v8
	s_delay_alu instid0(VALU_DEP_1) | instskip(SKIP_2) | instid1(SALU_CYCLE_1)
	v_cmp_lt_i32_e32 vcc_lo, -1, v4
	v_cmp_gt_i32_e64 s2, s2, v4
	s_and_b32 s2, vcc_lo, s2
	s_xor_b32 s10, s2, -1
	s_and_saveexec_b32 s11, s2
	s_cbranch_execz .LBB2_22
; %bb.2:
	s_load_b64 s[12:13], s[0:1], 0x20
	v_mov_b32_e32 v10, 4
	s_wait_kmcnt 0x0
	v_lshl_add_u64 v[4:5], v[2:3], 2, s[12:13]
	global_load_b32 v9, v[4:5], off
	s_wait_loadcnt 0x0
	v_subrev_nc_u32_e32 v6, s4, v9
	s_delay_alu instid0(VALU_DEP_1) | instskip(SKIP_2) | instid1(SALU_CYCLE_1)
	v_cmp_lt_i32_e32 vcc_lo, -1, v6
	v_cmp_gt_i32_e64 s2, s3, v6
	s_and_b32 s2, vcc_lo, s2
	s_xor_b32 s12, s2, -1
	s_and_saveexec_b32 s13, s2
	s_cbranch_execz .LBB2_21
; %bb.3:
	s_load_b64 s[14:15], s[0:1], 0x10
	v_mov_b32_e32 v10, 1
	s_wait_kmcnt 0x0
	v_lshl_add_u64 v[6:7], v[2:3], 3, s[14:15]
	global_load_b64 v[6:7], v[6:7], off
	s_wait_loadcnt 0x0
	v_cmp_eq_f32_e32 vcc_lo, 0x7f800000, v6
	v_cmp_eq_f32_e64 s2, 0x7f800000, v7
	s_or_b32 s14, vcc_lo, s2
	s_mov_b32 s2, -1
	s_xor_b32 s16, s14, -1
	s_delay_alu instid0(SALU_CYCLE_1)
	s_and_saveexec_b32 s15, s16
	s_cbranch_execz .LBB2_20
; %bb.4:
	v_mov_b32_e32 v10, 2
	s_mov_b32 s16, exec_lo
	v_cmpx_o_f32_e32 v6, v7
	s_cbranch_execz .LBB2_19
; %bb.5:
	s_cmp_lg_u32 s5, 0
	s_mov_b32 s18, 0
	s_cbranch_scc0 .LBB2_8
; %bb.6:
	s_cmp_lg_u32 s6, 0
	s_mov_b32 s2, 0
	s_cbranch_scc0 .LBB2_9
; %bb.7:
	v_cmp_le_i32_e32 vcc_lo, v8, v9
	s_mov_b32 s5, -1
	s_mov_b32 s6, 7
	s_and_b32 s18, vcc_lo, exec_lo
	s_branch .LBB2_10
.LBB2_8:
	s_mov_b32 s18, -1
	s_mov_b32 s5, 0
	s_mov_b32 s6, 2
	s_branch .LBB2_12
.LBB2_9:
	s_mov_b32 s2, -1
	s_mov_b32 s6, 2
	s_mov_b32 s5, 0
.LBB2_10:
	s_and_not1_b32 vcc_lo, exec_lo, s2
	s_cbranch_vccnz .LBB2_12
; %bb.11:
	v_cmp_lt_i32_e32 vcc_lo, v8, v9
	v_cmp_ge_i32_e64 s2, v8, v9
	s_and_not1_b32 s5, s5, exec_lo
	s_and_not1_b32 s17, s18, exec_lo
	s_mov_b32 s6, 7
	s_and_b32 s18, vcc_lo, exec_lo
	s_and_b32 s2, s2, exec_lo
	s_or_b32 s5, s5, s18
	s_or_b32 s18, s17, s2
.LBB2_12:
	v_mov_b32_e32 v10, s6
	s_and_saveexec_b32 s17, s18
	s_cbranch_execz .LBB2_18
; %bb.13:
	s_add_nc_u64 s[8:9], s[8:9], -1
	s_cmp_eq_u32 s7, 0
	v_cmp_gt_u64_e32 vcc_lo, s[8:9], v[2:3]
	v_mov_b32_e32 v10, s6
	s_cselect_b32 s7, -1, 0
	s_mov_b32 s2, 0
	s_and_b32 s8, s7, vcc_lo
	s_delay_alu instid0(SALU_CYCLE_1)
	s_and_saveexec_b32 s7, s8
	s_cbranch_execz .LBB2_17
; %bb.14:
	global_load_b32 v0, v[0:1], off offset:4
	v_mov_b32_e32 v10, s6
	s_mov_b32 s6, exec_lo
	s_wait_loadcnt 0x0
	v_cmpx_eq_u32_e64 v8, v0
	s_cbranch_execz .LBB2_16
; %bb.15:
	global_load_b32 v0, v[4:5], off offset:4
	v_mov_b32_e32 v10, 6
	s_wait_loadcnt 0x0
	v_subrev_nc_u32_e32 v1, s4, v0
	s_delay_alu instid0(VALU_DEP_1) | instskip(SKIP_3) | instid1(SALU_CYCLE_1)
	v_cmp_lt_i32_e32 vcc_lo, -1, v1
	v_cmp_gt_i32_e64 s2, s3, v1
	v_cmp_gt_i32_e64 s3, v9, v0
	s_and_b32 s2, vcc_lo, s2
	s_and_b32 s2, s3, s2
	s_delay_alu instid0(SALU_CYCLE_1)
	s_and_b32 s2, s2, exec_lo
.LBB2_16:
	s_or_b32 exec_lo, exec_lo, s6
	s_delay_alu instid0(SALU_CYCLE_1)
	s_and_b32 s2, s2, exec_lo
.LBB2_17:
	s_or_b32 exec_lo, exec_lo, s7
	s_delay_alu instid0(SALU_CYCLE_1) | instskip(SKIP_1) | instid1(SALU_CYCLE_1)
	s_and_not1_b32 s3, s5, exec_lo
	s_and_b32 s2, s2, exec_lo
	s_or_b32 s5, s3, s2
.LBB2_18:
	s_or_b32 exec_lo, exec_lo, s17
	s_delay_alu instid0(SALU_CYCLE_1)
	s_or_not1_b32 s2, s5, exec_lo
.LBB2_19:
	s_or_b32 exec_lo, exec_lo, s16
	s_delay_alu instid0(SALU_CYCLE_1) | instskip(SKIP_1) | instid1(SALU_CYCLE_1)
	s_and_not1_b32 s3, s14, exec_lo
	s_and_b32 s2, s2, exec_lo
	s_or_b32 s14, s3, s2
.LBB2_20:
	s_or_b32 exec_lo, exec_lo, s15
	s_delay_alu instid0(SALU_CYCLE_1) | instskip(SKIP_1) | instid1(SALU_CYCLE_1)
	s_and_not1_b32 s2, s12, exec_lo
	s_and_b32 s3, s14, exec_lo
	s_or_b32 s12, s2, s3
.LBB2_21:
	s_or_b32 exec_lo, exec_lo, s13
	s_delay_alu instid0(SALU_CYCLE_1) | instskip(SKIP_1) | instid1(SALU_CYCLE_1)
	s_and_not1_b32 s2, s10, exec_lo
	s_and_b32 s3, s12, exec_lo
	s_or_b32 s10, s2, s3
.LBB2_22:
	s_or_b32 exec_lo, exec_lo, s11
	s_delay_alu instid0(SALU_CYCLE_1)
	s_and_b32 exec_lo, exec_lo, s10
	s_cbranch_execz .LBB2_24
; %bb.23:
	s_load_b64 s[0:1], s[0:1], 0x38
	v_mov_b32_e32 v0, 0
	s_wait_kmcnt 0x0
	global_store_b32 v0, v10, s[0:1]
.LBB2_24:
	s_endpgm
	.section	.rodata,"a",@progbits
	.p2align	6, 0x0
	.amdhsa_kernel _ZN9rocsparseL23check_matrix_coo_deviceILj256E21rocsparse_complex_numIfEiiEEvT2_S3_lPKT0_PKT1_PKS3_21rocsparse_index_base_22rocsparse_matrix_type_20rocsparse_fill_mode_23rocsparse_storage_mode_P22rocsparse_data_status_
		.amdhsa_group_segment_fixed_size 0
		.amdhsa_private_segment_fixed_size 0
		.amdhsa_kernarg_size 64
		.amdhsa_user_sgpr_count 2
		.amdhsa_user_sgpr_dispatch_ptr 0
		.amdhsa_user_sgpr_queue_ptr 0
		.amdhsa_user_sgpr_kernarg_segment_ptr 1
		.amdhsa_user_sgpr_dispatch_id 0
		.amdhsa_user_sgpr_kernarg_preload_length 0
		.amdhsa_user_sgpr_kernarg_preload_offset 0
		.amdhsa_user_sgpr_private_segment_size 0
		.amdhsa_wavefront_size32 1
		.amdhsa_uses_dynamic_stack 0
		.amdhsa_enable_private_segment 0
		.amdhsa_system_sgpr_workgroup_id_x 1
		.amdhsa_system_sgpr_workgroup_id_y 0
		.amdhsa_system_sgpr_workgroup_id_z 0
		.amdhsa_system_sgpr_workgroup_info 0
		.amdhsa_system_vgpr_workitem_id 0
		.amdhsa_next_free_vgpr 11
		.amdhsa_next_free_sgpr 19
		.amdhsa_named_barrier_count 0
		.amdhsa_reserve_vcc 1
		.amdhsa_float_round_mode_32 0
		.amdhsa_float_round_mode_16_64 0
		.amdhsa_float_denorm_mode_32 3
		.amdhsa_float_denorm_mode_16_64 3
		.amdhsa_fp16_overflow 0
		.amdhsa_memory_ordered 1
		.amdhsa_forward_progress 1
		.amdhsa_inst_pref_size 7
		.amdhsa_round_robin_scheduling 0
		.amdhsa_exception_fp_ieee_invalid_op 0
		.amdhsa_exception_fp_denorm_src 0
		.amdhsa_exception_fp_ieee_div_zero 0
		.amdhsa_exception_fp_ieee_overflow 0
		.amdhsa_exception_fp_ieee_underflow 0
		.amdhsa_exception_fp_ieee_inexact 0
		.amdhsa_exception_int_div_zero 0
	.end_amdhsa_kernel
	.section	.text._ZN9rocsparseL23check_matrix_coo_deviceILj256E21rocsparse_complex_numIfEiiEEvT2_S3_lPKT0_PKT1_PKS3_21rocsparse_index_base_22rocsparse_matrix_type_20rocsparse_fill_mode_23rocsparse_storage_mode_P22rocsparse_data_status_,"axG",@progbits,_ZN9rocsparseL23check_matrix_coo_deviceILj256E21rocsparse_complex_numIfEiiEEvT2_S3_lPKT0_PKT1_PKS3_21rocsparse_index_base_22rocsparse_matrix_type_20rocsparse_fill_mode_23rocsparse_storage_mode_P22rocsparse_data_status_,comdat
.Lfunc_end2:
	.size	_ZN9rocsparseL23check_matrix_coo_deviceILj256E21rocsparse_complex_numIfEiiEEvT2_S3_lPKT0_PKT1_PKS3_21rocsparse_index_base_22rocsparse_matrix_type_20rocsparse_fill_mode_23rocsparse_storage_mode_P22rocsparse_data_status_, .Lfunc_end2-_ZN9rocsparseL23check_matrix_coo_deviceILj256E21rocsparse_complex_numIfEiiEEvT2_S3_lPKT0_PKT1_PKS3_21rocsparse_index_base_22rocsparse_matrix_type_20rocsparse_fill_mode_23rocsparse_storage_mode_P22rocsparse_data_status_
                                        ; -- End function
	.set _ZN9rocsparseL23check_matrix_coo_deviceILj256E21rocsparse_complex_numIfEiiEEvT2_S3_lPKT0_PKT1_PKS3_21rocsparse_index_base_22rocsparse_matrix_type_20rocsparse_fill_mode_23rocsparse_storage_mode_P22rocsparse_data_status_.num_vgpr, 11
	.set _ZN9rocsparseL23check_matrix_coo_deviceILj256E21rocsparse_complex_numIfEiiEEvT2_S3_lPKT0_PKT1_PKS3_21rocsparse_index_base_22rocsparse_matrix_type_20rocsparse_fill_mode_23rocsparse_storage_mode_P22rocsparse_data_status_.num_agpr, 0
	.set _ZN9rocsparseL23check_matrix_coo_deviceILj256E21rocsparse_complex_numIfEiiEEvT2_S3_lPKT0_PKT1_PKS3_21rocsparse_index_base_22rocsparse_matrix_type_20rocsparse_fill_mode_23rocsparse_storage_mode_P22rocsparse_data_status_.numbered_sgpr, 19
	.set _ZN9rocsparseL23check_matrix_coo_deviceILj256E21rocsparse_complex_numIfEiiEEvT2_S3_lPKT0_PKT1_PKS3_21rocsparse_index_base_22rocsparse_matrix_type_20rocsparse_fill_mode_23rocsparse_storage_mode_P22rocsparse_data_status_.num_named_barrier, 0
	.set _ZN9rocsparseL23check_matrix_coo_deviceILj256E21rocsparse_complex_numIfEiiEEvT2_S3_lPKT0_PKT1_PKS3_21rocsparse_index_base_22rocsparse_matrix_type_20rocsparse_fill_mode_23rocsparse_storage_mode_P22rocsparse_data_status_.private_seg_size, 0
	.set _ZN9rocsparseL23check_matrix_coo_deviceILj256E21rocsparse_complex_numIfEiiEEvT2_S3_lPKT0_PKT1_PKS3_21rocsparse_index_base_22rocsparse_matrix_type_20rocsparse_fill_mode_23rocsparse_storage_mode_P22rocsparse_data_status_.uses_vcc, 1
	.set _ZN9rocsparseL23check_matrix_coo_deviceILj256E21rocsparse_complex_numIfEiiEEvT2_S3_lPKT0_PKT1_PKS3_21rocsparse_index_base_22rocsparse_matrix_type_20rocsparse_fill_mode_23rocsparse_storage_mode_P22rocsparse_data_status_.uses_flat_scratch, 0
	.set _ZN9rocsparseL23check_matrix_coo_deviceILj256E21rocsparse_complex_numIfEiiEEvT2_S3_lPKT0_PKT1_PKS3_21rocsparse_index_base_22rocsparse_matrix_type_20rocsparse_fill_mode_23rocsparse_storage_mode_P22rocsparse_data_status_.has_dyn_sized_stack, 0
	.set _ZN9rocsparseL23check_matrix_coo_deviceILj256E21rocsparse_complex_numIfEiiEEvT2_S3_lPKT0_PKT1_PKS3_21rocsparse_index_base_22rocsparse_matrix_type_20rocsparse_fill_mode_23rocsparse_storage_mode_P22rocsparse_data_status_.has_recursion, 0
	.set _ZN9rocsparseL23check_matrix_coo_deviceILj256E21rocsparse_complex_numIfEiiEEvT2_S3_lPKT0_PKT1_PKS3_21rocsparse_index_base_22rocsparse_matrix_type_20rocsparse_fill_mode_23rocsparse_storage_mode_P22rocsparse_data_status_.has_indirect_call, 0
	.section	.AMDGPU.csdata,"",@progbits
; Kernel info:
; codeLenInByte = 780
; TotalNumSgprs: 21
; NumVgprs: 11
; ScratchSize: 0
; MemoryBound: 0
; FloatMode: 240
; IeeeMode: 1
; LDSByteSize: 0 bytes/workgroup (compile time only)
; SGPRBlocks: 0
; VGPRBlocks: 0
; NumSGPRsForWavesPerEU: 21
; NumVGPRsForWavesPerEU: 11
; NamedBarCnt: 0
; Occupancy: 16
; WaveLimiterHint : 0
; COMPUTE_PGM_RSRC2:SCRATCH_EN: 0
; COMPUTE_PGM_RSRC2:USER_SGPR: 2
; COMPUTE_PGM_RSRC2:TRAP_HANDLER: 0
; COMPUTE_PGM_RSRC2:TGID_X_EN: 1
; COMPUTE_PGM_RSRC2:TGID_Y_EN: 0
; COMPUTE_PGM_RSRC2:TGID_Z_EN: 0
; COMPUTE_PGM_RSRC2:TIDIG_COMP_CNT: 0
	.section	.text._ZN9rocsparseL23check_matrix_coo_deviceILj256E21rocsparse_complex_numIdEiiEEvT2_S3_lPKT0_PKT1_PKS3_21rocsparse_index_base_22rocsparse_matrix_type_20rocsparse_fill_mode_23rocsparse_storage_mode_P22rocsparse_data_status_,"axG",@progbits,_ZN9rocsparseL23check_matrix_coo_deviceILj256E21rocsparse_complex_numIdEiiEEvT2_S3_lPKT0_PKT1_PKS3_21rocsparse_index_base_22rocsparse_matrix_type_20rocsparse_fill_mode_23rocsparse_storage_mode_P22rocsparse_data_status_,comdat
	.globl	_ZN9rocsparseL23check_matrix_coo_deviceILj256E21rocsparse_complex_numIdEiiEEvT2_S3_lPKT0_PKT1_PKS3_21rocsparse_index_base_22rocsparse_matrix_type_20rocsparse_fill_mode_23rocsparse_storage_mode_P22rocsparse_data_status_ ; -- Begin function _ZN9rocsparseL23check_matrix_coo_deviceILj256E21rocsparse_complex_numIdEiiEEvT2_S3_lPKT0_PKT1_PKS3_21rocsparse_index_base_22rocsparse_matrix_type_20rocsparse_fill_mode_23rocsparse_storage_mode_P22rocsparse_data_status_
	.p2align	8
	.type	_ZN9rocsparseL23check_matrix_coo_deviceILj256E21rocsparse_complex_numIdEiiEEvT2_S3_lPKT0_PKT1_PKS3_21rocsparse_index_base_22rocsparse_matrix_type_20rocsparse_fill_mode_23rocsparse_storage_mode_P22rocsparse_data_status_,@function
_ZN9rocsparseL23check_matrix_coo_deviceILj256E21rocsparse_complex_numIdEiiEEvT2_S3_lPKT0_PKT1_PKS3_21rocsparse_index_base_22rocsparse_matrix_type_20rocsparse_fill_mode_23rocsparse_storage_mode_P22rocsparse_data_status_: ; @_ZN9rocsparseL23check_matrix_coo_deviceILj256E21rocsparse_complex_numIdEiiEEvT2_S3_lPKT0_PKT1_PKS3_21rocsparse_index_base_22rocsparse_matrix_type_20rocsparse_fill_mode_23rocsparse_storage_mode_P22rocsparse_data_status_
; %bb.0:
	s_load_b64 s[8:9], s[0:1], 0x8
	s_bfe_u32 s2, ttmp6, 0x4000c
	s_and_b32 s3, ttmp6, 15
	s_add_co_i32 s2, s2, 1
	s_getreg_b32 s4, hwreg(HW_REG_IB_STS2, 6, 4)
	s_mul_i32 s2, ttmp9, s2
	v_mov_b32_e32 v7, 0
	s_add_co_i32 s3, s3, s2
	s_cmp_eq_u32 s4, 0
	s_cselect_b32 s2, ttmp9, s3
	s_delay_alu instid0(SALU_CYCLE_1) | instskip(SKIP_2) | instid1(VALU_DEP_1)
	v_lshl_or_b32 v6, s2, 8, v0
	s_mov_b32 s2, exec_lo
	s_wait_kmcnt 0x0
	v_cmpx_gt_i64_e64 s[8:9], v[6:7]
	s_cbranch_execz .LBB3_24
; %bb.1:
	s_clause 0x1
	s_load_b64 s[4:5], s[0:1], 0x18
	s_load_b64 s[2:3], s[0:1], 0x0
	v_mov_b32_e32 v12, 4
	s_wait_kmcnt 0x0
	v_lshl_add_u64 v[4:5], v[6:7], 2, s[4:5]
	s_load_b128 s[4:7], s[0:1], 0x28
	global_load_b32 v10, v[4:5], off
	s_wait_loadcnt 0x0
	s_wait_kmcnt 0x0
	v_subrev_nc_u32_e32 v0, s4, v10
	s_delay_alu instid0(VALU_DEP_1) | instskip(SKIP_2) | instid1(SALU_CYCLE_1)
	v_cmp_lt_i32_e32 vcc_lo, -1, v0
	v_cmp_gt_i32_e64 s2, s2, v0
	s_and_b32 s2, vcc_lo, s2
	s_xor_b32 s10, s2, -1
	s_and_saveexec_b32 s11, s2
	s_cbranch_execz .LBB3_22
; %bb.2:
	s_load_b64 s[12:13], s[0:1], 0x20
	v_mov_b32_e32 v12, 4
	s_wait_kmcnt 0x0
	v_lshl_add_u64 v[8:9], v[6:7], 2, s[12:13]
	global_load_b32 v11, v[8:9], off
	s_wait_loadcnt 0x0
	v_subrev_nc_u32_e32 v0, s4, v11
	s_delay_alu instid0(VALU_DEP_1) | instskip(SKIP_2) | instid1(SALU_CYCLE_1)
	v_cmp_lt_i32_e32 vcc_lo, -1, v0
	v_cmp_gt_i32_e64 s2, s3, v0
	s_and_b32 s2, vcc_lo, s2
	s_xor_b32 s12, s2, -1
	s_and_saveexec_b32 s13, s2
	s_cbranch_execz .LBB3_21
; %bb.3:
	s_load_b64 s[14:15], s[0:1], 0x10
	v_mov_b32_e32 v12, 1
	s_wait_kmcnt 0x0
	v_lshl_add_u64 v[0:1], v[6:7], 4, s[14:15]
	global_load_b128 v[0:3], v[0:1], off
	s_wait_loadcnt 0x0
	v_cmp_eq_f64_e32 vcc_lo, 0x7ff00000, v[0:1]
	v_cmp_eq_f64_e64 s2, 0x7ff00000, v[2:3]
	s_or_b32 s14, vcc_lo, s2
	s_mov_b32 s2, -1
	s_xor_b32 s16, s14, -1
	s_delay_alu instid0(SALU_CYCLE_1)
	s_and_saveexec_b32 s15, s16
	s_cbranch_execz .LBB3_20
; %bb.4:
	v_mov_b32_e32 v12, 2
	s_mov_b32 s16, exec_lo
	v_cmpx_o_f64_e32 v[0:1], v[2:3]
	s_cbranch_execz .LBB3_19
; %bb.5:
	s_cmp_lg_u32 s5, 0
	s_mov_b32 s18, 0
	s_cbranch_scc0 .LBB3_8
; %bb.6:
	s_cmp_lg_u32 s6, 0
	s_mov_b32 s2, 0
	s_cbranch_scc0 .LBB3_9
; %bb.7:
	v_cmp_le_i32_e32 vcc_lo, v10, v11
	s_mov_b32 s5, -1
	s_mov_b32 s6, 7
	s_and_b32 s18, vcc_lo, exec_lo
	s_branch .LBB3_10
.LBB3_8:
	s_mov_b32 s18, -1
	s_mov_b32 s5, 0
	s_mov_b32 s6, 2
	s_branch .LBB3_12
.LBB3_9:
	s_mov_b32 s2, -1
	s_mov_b32 s6, 2
	s_mov_b32 s5, 0
.LBB3_10:
	s_and_not1_b32 vcc_lo, exec_lo, s2
	s_cbranch_vccnz .LBB3_12
; %bb.11:
	v_cmp_lt_i32_e32 vcc_lo, v10, v11
	v_cmp_ge_i32_e64 s2, v10, v11
	s_and_not1_b32 s5, s5, exec_lo
	s_and_not1_b32 s17, s18, exec_lo
	s_mov_b32 s6, 7
	s_and_b32 s18, vcc_lo, exec_lo
	s_and_b32 s2, s2, exec_lo
	s_or_b32 s5, s5, s18
	s_or_b32 s18, s17, s2
.LBB3_12:
	v_mov_b32_e32 v12, s6
	s_and_saveexec_b32 s17, s18
	s_cbranch_execz .LBB3_18
; %bb.13:
	s_add_nc_u64 s[8:9], s[8:9], -1
	s_cmp_eq_u32 s7, 0
	v_cmp_gt_u64_e32 vcc_lo, s[8:9], v[6:7]
	v_mov_b32_e32 v12, s6
	s_cselect_b32 s7, -1, 0
	s_mov_b32 s2, 0
	s_and_b32 s8, s7, vcc_lo
	s_delay_alu instid0(SALU_CYCLE_1)
	s_and_saveexec_b32 s7, s8
	s_cbranch_execz .LBB3_17
; %bb.14:
	global_load_b32 v0, v[4:5], off offset:4
	v_mov_b32_e32 v12, s6
	s_mov_b32 s6, exec_lo
	s_wait_loadcnt 0x0
	v_cmpx_eq_u32_e64 v10, v0
	s_cbranch_execz .LBB3_16
; %bb.15:
	global_load_b32 v0, v[8:9], off offset:4
	v_mov_b32_e32 v12, 6
	s_wait_loadcnt 0x0
	v_subrev_nc_u32_e32 v1, s4, v0
	s_delay_alu instid0(VALU_DEP_1) | instskip(SKIP_3) | instid1(SALU_CYCLE_1)
	v_cmp_lt_i32_e32 vcc_lo, -1, v1
	v_cmp_gt_i32_e64 s2, s3, v1
	v_cmp_gt_i32_e64 s3, v11, v0
	s_and_b32 s2, vcc_lo, s2
	s_and_b32 s2, s3, s2
	s_delay_alu instid0(SALU_CYCLE_1)
	s_and_b32 s2, s2, exec_lo
.LBB3_16:
	s_or_b32 exec_lo, exec_lo, s6
	s_delay_alu instid0(SALU_CYCLE_1)
	s_and_b32 s2, s2, exec_lo
.LBB3_17:
	s_or_b32 exec_lo, exec_lo, s7
	s_delay_alu instid0(SALU_CYCLE_1) | instskip(SKIP_1) | instid1(SALU_CYCLE_1)
	s_and_not1_b32 s3, s5, exec_lo
	s_and_b32 s2, s2, exec_lo
	s_or_b32 s5, s3, s2
.LBB3_18:
	s_or_b32 exec_lo, exec_lo, s17
	s_delay_alu instid0(SALU_CYCLE_1)
	s_or_not1_b32 s2, s5, exec_lo
.LBB3_19:
	s_or_b32 exec_lo, exec_lo, s16
	s_delay_alu instid0(SALU_CYCLE_1) | instskip(SKIP_1) | instid1(SALU_CYCLE_1)
	s_and_not1_b32 s3, s14, exec_lo
	s_and_b32 s2, s2, exec_lo
	s_or_b32 s14, s3, s2
.LBB3_20:
	s_or_b32 exec_lo, exec_lo, s15
	s_delay_alu instid0(SALU_CYCLE_1) | instskip(SKIP_1) | instid1(SALU_CYCLE_1)
	s_and_not1_b32 s2, s12, exec_lo
	s_and_b32 s3, s14, exec_lo
	s_or_b32 s12, s2, s3
.LBB3_21:
	s_or_b32 exec_lo, exec_lo, s13
	s_delay_alu instid0(SALU_CYCLE_1) | instskip(SKIP_1) | instid1(SALU_CYCLE_1)
	s_and_not1_b32 s2, s10, exec_lo
	s_and_b32 s3, s12, exec_lo
	s_or_b32 s10, s2, s3
.LBB3_22:
	s_or_b32 exec_lo, exec_lo, s11
	s_delay_alu instid0(SALU_CYCLE_1)
	s_and_b32 exec_lo, exec_lo, s10
	s_cbranch_execz .LBB3_24
; %bb.23:
	s_load_b64 s[0:1], s[0:1], 0x38
	v_mov_b32_e32 v0, 0
	s_wait_kmcnt 0x0
	global_store_b32 v0, v12, s[0:1]
.LBB3_24:
	s_endpgm
	.section	.rodata,"a",@progbits
	.p2align	6, 0x0
	.amdhsa_kernel _ZN9rocsparseL23check_matrix_coo_deviceILj256E21rocsparse_complex_numIdEiiEEvT2_S3_lPKT0_PKT1_PKS3_21rocsparse_index_base_22rocsparse_matrix_type_20rocsparse_fill_mode_23rocsparse_storage_mode_P22rocsparse_data_status_
		.amdhsa_group_segment_fixed_size 0
		.amdhsa_private_segment_fixed_size 0
		.amdhsa_kernarg_size 64
		.amdhsa_user_sgpr_count 2
		.amdhsa_user_sgpr_dispatch_ptr 0
		.amdhsa_user_sgpr_queue_ptr 0
		.amdhsa_user_sgpr_kernarg_segment_ptr 1
		.amdhsa_user_sgpr_dispatch_id 0
		.amdhsa_user_sgpr_kernarg_preload_length 0
		.amdhsa_user_sgpr_kernarg_preload_offset 0
		.amdhsa_user_sgpr_private_segment_size 0
		.amdhsa_wavefront_size32 1
		.amdhsa_uses_dynamic_stack 0
		.amdhsa_enable_private_segment 0
		.amdhsa_system_sgpr_workgroup_id_x 1
		.amdhsa_system_sgpr_workgroup_id_y 0
		.amdhsa_system_sgpr_workgroup_id_z 0
		.amdhsa_system_sgpr_workgroup_info 0
		.amdhsa_system_vgpr_workitem_id 0
		.amdhsa_next_free_vgpr 13
		.amdhsa_next_free_sgpr 19
		.amdhsa_named_barrier_count 0
		.amdhsa_reserve_vcc 1
		.amdhsa_float_round_mode_32 0
		.amdhsa_float_round_mode_16_64 0
		.amdhsa_float_denorm_mode_32 3
		.amdhsa_float_denorm_mode_16_64 3
		.amdhsa_fp16_overflow 0
		.amdhsa_memory_ordered 1
		.amdhsa_forward_progress 1
		.amdhsa_inst_pref_size 7
		.amdhsa_round_robin_scheduling 0
		.amdhsa_exception_fp_ieee_invalid_op 0
		.amdhsa_exception_fp_denorm_src 0
		.amdhsa_exception_fp_ieee_div_zero 0
		.amdhsa_exception_fp_ieee_overflow 0
		.amdhsa_exception_fp_ieee_underflow 0
		.amdhsa_exception_fp_ieee_inexact 0
		.amdhsa_exception_int_div_zero 0
	.end_amdhsa_kernel
	.section	.text._ZN9rocsparseL23check_matrix_coo_deviceILj256E21rocsparse_complex_numIdEiiEEvT2_S3_lPKT0_PKT1_PKS3_21rocsparse_index_base_22rocsparse_matrix_type_20rocsparse_fill_mode_23rocsparse_storage_mode_P22rocsparse_data_status_,"axG",@progbits,_ZN9rocsparseL23check_matrix_coo_deviceILj256E21rocsparse_complex_numIdEiiEEvT2_S3_lPKT0_PKT1_PKS3_21rocsparse_index_base_22rocsparse_matrix_type_20rocsparse_fill_mode_23rocsparse_storage_mode_P22rocsparse_data_status_,comdat
.Lfunc_end3:
	.size	_ZN9rocsparseL23check_matrix_coo_deviceILj256E21rocsparse_complex_numIdEiiEEvT2_S3_lPKT0_PKT1_PKS3_21rocsparse_index_base_22rocsparse_matrix_type_20rocsparse_fill_mode_23rocsparse_storage_mode_P22rocsparse_data_status_, .Lfunc_end3-_ZN9rocsparseL23check_matrix_coo_deviceILj256E21rocsparse_complex_numIdEiiEEvT2_S3_lPKT0_PKT1_PKS3_21rocsparse_index_base_22rocsparse_matrix_type_20rocsparse_fill_mode_23rocsparse_storage_mode_P22rocsparse_data_status_
                                        ; -- End function
	.set _ZN9rocsparseL23check_matrix_coo_deviceILj256E21rocsparse_complex_numIdEiiEEvT2_S3_lPKT0_PKT1_PKS3_21rocsparse_index_base_22rocsparse_matrix_type_20rocsparse_fill_mode_23rocsparse_storage_mode_P22rocsparse_data_status_.num_vgpr, 13
	.set _ZN9rocsparseL23check_matrix_coo_deviceILj256E21rocsparse_complex_numIdEiiEEvT2_S3_lPKT0_PKT1_PKS3_21rocsparse_index_base_22rocsparse_matrix_type_20rocsparse_fill_mode_23rocsparse_storage_mode_P22rocsparse_data_status_.num_agpr, 0
	.set _ZN9rocsparseL23check_matrix_coo_deviceILj256E21rocsparse_complex_numIdEiiEEvT2_S3_lPKT0_PKT1_PKS3_21rocsparse_index_base_22rocsparse_matrix_type_20rocsparse_fill_mode_23rocsparse_storage_mode_P22rocsparse_data_status_.numbered_sgpr, 19
	.set _ZN9rocsparseL23check_matrix_coo_deviceILj256E21rocsparse_complex_numIdEiiEEvT2_S3_lPKT0_PKT1_PKS3_21rocsparse_index_base_22rocsparse_matrix_type_20rocsparse_fill_mode_23rocsparse_storage_mode_P22rocsparse_data_status_.num_named_barrier, 0
	.set _ZN9rocsparseL23check_matrix_coo_deviceILj256E21rocsparse_complex_numIdEiiEEvT2_S3_lPKT0_PKT1_PKS3_21rocsparse_index_base_22rocsparse_matrix_type_20rocsparse_fill_mode_23rocsparse_storage_mode_P22rocsparse_data_status_.private_seg_size, 0
	.set _ZN9rocsparseL23check_matrix_coo_deviceILj256E21rocsparse_complex_numIdEiiEEvT2_S3_lPKT0_PKT1_PKS3_21rocsparse_index_base_22rocsparse_matrix_type_20rocsparse_fill_mode_23rocsparse_storage_mode_P22rocsparse_data_status_.uses_vcc, 1
	.set _ZN9rocsparseL23check_matrix_coo_deviceILj256E21rocsparse_complex_numIdEiiEEvT2_S3_lPKT0_PKT1_PKS3_21rocsparse_index_base_22rocsparse_matrix_type_20rocsparse_fill_mode_23rocsparse_storage_mode_P22rocsparse_data_status_.uses_flat_scratch, 0
	.set _ZN9rocsparseL23check_matrix_coo_deviceILj256E21rocsparse_complex_numIdEiiEEvT2_S3_lPKT0_PKT1_PKS3_21rocsparse_index_base_22rocsparse_matrix_type_20rocsparse_fill_mode_23rocsparse_storage_mode_P22rocsparse_data_status_.has_dyn_sized_stack, 0
	.set _ZN9rocsparseL23check_matrix_coo_deviceILj256E21rocsparse_complex_numIdEiiEEvT2_S3_lPKT0_PKT1_PKS3_21rocsparse_index_base_22rocsparse_matrix_type_20rocsparse_fill_mode_23rocsparse_storage_mode_P22rocsparse_data_status_.has_recursion, 0
	.set _ZN9rocsparseL23check_matrix_coo_deviceILj256E21rocsparse_complex_numIdEiiEEvT2_S3_lPKT0_PKT1_PKS3_21rocsparse_index_base_22rocsparse_matrix_type_20rocsparse_fill_mode_23rocsparse_storage_mode_P22rocsparse_data_status_.has_indirect_call, 0
	.section	.AMDGPU.csdata,"",@progbits
; Kernel info:
; codeLenInByte = 780
; TotalNumSgprs: 21
; NumVgprs: 13
; ScratchSize: 0
; MemoryBound: 0
; FloatMode: 240
; IeeeMode: 1
; LDSByteSize: 0 bytes/workgroup (compile time only)
; SGPRBlocks: 0
; VGPRBlocks: 0
; NumSGPRsForWavesPerEU: 21
; NumVGPRsForWavesPerEU: 13
; NamedBarCnt: 0
; Occupancy: 16
; WaveLimiterHint : 0
; COMPUTE_PGM_RSRC2:SCRATCH_EN: 0
; COMPUTE_PGM_RSRC2:USER_SGPR: 2
; COMPUTE_PGM_RSRC2:TRAP_HANDLER: 0
; COMPUTE_PGM_RSRC2:TGID_X_EN: 1
; COMPUTE_PGM_RSRC2:TGID_Y_EN: 0
; COMPUTE_PGM_RSRC2:TGID_Z_EN: 0
; COMPUTE_PGM_RSRC2:TIDIG_COMP_CNT: 0
	.section	.text._ZN9rocsparseL23check_matrix_coo_deviceILj256EfllEEvT2_S1_lPKT0_PKT1_PKS1_21rocsparse_index_base_22rocsparse_matrix_type_20rocsparse_fill_mode_23rocsparse_storage_mode_P22rocsparse_data_status_,"axG",@progbits,_ZN9rocsparseL23check_matrix_coo_deviceILj256EfllEEvT2_S1_lPKT0_PKT1_PKS1_21rocsparse_index_base_22rocsparse_matrix_type_20rocsparse_fill_mode_23rocsparse_storage_mode_P22rocsparse_data_status_,comdat
	.globl	_ZN9rocsparseL23check_matrix_coo_deviceILj256EfllEEvT2_S1_lPKT0_PKT1_PKS1_21rocsparse_index_base_22rocsparse_matrix_type_20rocsparse_fill_mode_23rocsparse_storage_mode_P22rocsparse_data_status_ ; -- Begin function _ZN9rocsparseL23check_matrix_coo_deviceILj256EfllEEvT2_S1_lPKT0_PKT1_PKS1_21rocsparse_index_base_22rocsparse_matrix_type_20rocsparse_fill_mode_23rocsparse_storage_mode_P22rocsparse_data_status_
	.p2align	8
	.type	_ZN9rocsparseL23check_matrix_coo_deviceILj256EfllEEvT2_S1_lPKT0_PKT1_PKS1_21rocsparse_index_base_22rocsparse_matrix_type_20rocsparse_fill_mode_23rocsparse_storage_mode_P22rocsparse_data_status_,@function
_ZN9rocsparseL23check_matrix_coo_deviceILj256EfllEEvT2_S1_lPKT0_PKT1_PKS1_21rocsparse_index_base_22rocsparse_matrix_type_20rocsparse_fill_mode_23rocsparse_storage_mode_P22rocsparse_data_status_: ; @_ZN9rocsparseL23check_matrix_coo_deviceILj256EfllEEvT2_S1_lPKT0_PKT1_PKS1_21rocsparse_index_base_22rocsparse_matrix_type_20rocsparse_fill_mode_23rocsparse_storage_mode_P22rocsparse_data_status_
; %bb.0:
	s_load_b64 s[14:15], s[0:1], 0x10
	s_bfe_u32 s2, ttmp6, 0x4000c
	s_and_b32 s3, ttmp6, 15
	s_add_co_i32 s2, s2, 1
	s_getreg_b32 s4, hwreg(HW_REG_IB_STS2, 6, 4)
	s_mul_i32 s2, ttmp9, s2
	v_mov_b32_e32 v1, 0
	s_add_co_i32 s3, s3, s2
	s_cmp_eq_u32 s4, 0
	s_mov_b32 s13, 0
	s_cselect_b32 s2, ttmp9, s3
	s_delay_alu instid0(SALU_CYCLE_1) | instskip(SKIP_2) | instid1(VALU_DEP_1)
	v_lshl_or_b32 v0, s2, 8, v0
	s_mov_b32 s2, exec_lo
	s_wait_kmcnt 0x0
	v_cmpx_gt_i64_e64 s[14:15], v[0:1]
	s_cbranch_execz .LBB4_24
; %bb.1:
	s_load_b64 s[2:3], s[0:1], 0x20
	v_mov_b32_e32 v10, 4
	s_wait_kmcnt 0x0
	v_lshl_add_u64 v[2:3], v[0:1], 3, s[2:3]
	global_load_b64 v[4:5], v[2:3], off
	s_clause 0x1
	s_load_b128 s[8:11], s[0:1], 0x30
	s_load_b128 s[4:7], s[0:1], 0x0
	s_wait_kmcnt 0x0
	s_mov_b32 s12, s8
	s_wait_loadcnt 0x0
	v_sub_nc_u64_e64 v[6:7], v[4:5], s[12:13]
	s_delay_alu instid0(VALU_DEP_1) | instskip(SKIP_2) | instid1(SALU_CYCLE_1)
	v_cmp_lt_i64_e32 vcc_lo, -1, v[6:7]
	v_cmp_gt_i64_e64 s2, s[4:5], v[6:7]
	s_and_b32 s2, vcc_lo, s2
	s_xor_b32 s5, s2, -1
	s_and_saveexec_b32 s8, s2
	s_cbranch_execz .LBB4_22
; %bb.2:
	s_load_b64 s[2:3], s[0:1], 0x28
	s_wait_kmcnt 0x0
	v_lshl_add_u64 v[8:9], v[0:1], 3, s[2:3]
	global_load_b64 v[6:7], v[8:9], off
	s_wait_loadcnt 0x0
	v_sub_nc_u64_e64 v[10:11], v[6:7], s[12:13]
	s_delay_alu instid0(VALU_DEP_1) | instskip(SKIP_3) | instid1(SALU_CYCLE_1)
	v_cmp_lt_i64_e32 vcc_lo, -1, v[10:11]
	v_cmp_gt_i64_e64 s2, s[6:7], v[10:11]
	v_mov_b32_e32 v10, 4
	s_and_b32 s2, vcc_lo, s2
	s_xor_b32 s16, s2, -1
	s_and_saveexec_b32 s17, s2
	s_cbranch_execz .LBB4_21
; %bb.3:
	s_load_b64 s[2:3], s[0:1], 0x18
	s_mov_b32 s18, exec_lo
	s_wait_kmcnt 0x0
	v_lshl_add_u64 v[10:11], v[0:1], 2, s[2:3]
	global_load_b32 v11, v[10:11], off
	s_wait_xcnt 0x0
	v_mov_b32_e32 v10, 1
	s_wait_loadcnt 0x0
	v_cmp_eq_f32_e64 s2, 0x7f800000, v11
	v_cmpx_neq_f32_e32 0x7f800000, v11
	s_cbranch_execz .LBB4_20
; %bb.4:
	v_mov_b32_e32 v10, 2
	s_mov_b32 s3, -1
	s_mov_b32 s19, exec_lo
	v_cmpx_o_f32_e32 v11, v11
	s_cbranch_execz .LBB4_19
; %bb.5:
	s_cmp_lg_u32 s9, 0
	s_mov_b32 s20, 0
	s_cbranch_scc0 .LBB4_8
; %bb.6:
	s_cmp_lg_u32 s10, 0
	s_mov_b32 s3, 0
	s_cbranch_scc0 .LBB4_9
; %bb.7:
	v_cmp_le_i64_e32 vcc_lo, v[4:5], v[6:7]
	s_mov_b32 s9, -1
	s_mov_b32 s4, 7
	s_and_b32 s20, vcc_lo, exec_lo
	s_branch .LBB4_10
.LBB4_8:
	s_mov_b32 s20, -1
	s_mov_b32 s9, 0
	s_mov_b32 s4, 2
	s_branch .LBB4_12
.LBB4_9:
	s_mov_b32 s3, -1
	s_mov_b32 s4, 2
	s_mov_b32 s9, 0
.LBB4_10:
	s_and_not1_b32 vcc_lo, exec_lo, s3
	s_cbranch_vccnz .LBB4_12
; %bb.11:
	v_cmp_lt_i64_e32 vcc_lo, v[4:5], v[6:7]
	v_cmp_ge_i64_e64 s3, v[4:5], v[6:7]
	s_and_not1_b32 s9, s9, exec_lo
	s_and_not1_b32 s10, s20, exec_lo
	s_mov_b32 s4, 7
	s_and_b32 s20, vcc_lo, exec_lo
	s_and_b32 s3, s3, exec_lo
	s_or_b32 s9, s9, s20
	s_or_b32 s20, s10, s3
.LBB4_12:
	v_mov_b32_e32 v10, s4
	s_and_saveexec_b32 s10, s20
	s_cbranch_execz .LBB4_18
; %bb.13:
	s_add_nc_u64 s[14:15], s[14:15], -1
	s_cmp_eq_u32 s11, 0
	v_cmp_gt_u64_e32 vcc_lo, s[14:15], v[0:1]
	v_mov_b32_e32 v10, s4
	s_cselect_b32 s11, -1, 0
	s_mov_b32 s3, 0
	s_and_b32 s14, s11, vcc_lo
	s_delay_alu instid0(SALU_CYCLE_1)
	s_and_saveexec_b32 s11, s14
	s_cbranch_execz .LBB4_17
; %bb.14:
	global_load_b64 v[0:1], v[2:3], off offset:8
	v_mov_b32_e32 v10, s4
	s_mov_b32 s14, exec_lo
	s_wait_loadcnt 0x0
	v_cmpx_eq_u64_e64 v[4:5], v[0:1]
	s_cbranch_execz .LBB4_16
; %bb.15:
	global_load_b64 v[0:1], v[8:9], off offset:8
	v_mov_b32_e32 v10, 6
	s_wait_loadcnt 0x0
	v_sub_nc_u64_e64 v[2:3], v[0:1], s[12:13]
	v_cmp_gt_i64_e64 s4, v[6:7], v[0:1]
	s_delay_alu instid0(VALU_DEP_2) | instskip(SKIP_2) | instid1(SALU_CYCLE_1)
	v_cmp_lt_i64_e32 vcc_lo, -1, v[2:3]
	v_cmp_gt_i64_e64 s3, s[6:7], v[2:3]
	s_and_b32 s3, vcc_lo, s3
	s_and_b32 s3, s4, s3
	s_delay_alu instid0(SALU_CYCLE_1)
	s_and_b32 s3, s3, exec_lo
.LBB4_16:
	s_or_b32 exec_lo, exec_lo, s14
	s_delay_alu instid0(SALU_CYCLE_1)
	s_and_b32 s3, s3, exec_lo
.LBB4_17:
	s_or_b32 exec_lo, exec_lo, s11
	s_delay_alu instid0(SALU_CYCLE_1) | instskip(SKIP_1) | instid1(SALU_CYCLE_1)
	s_and_not1_b32 s4, s9, exec_lo
	s_and_b32 s3, s3, exec_lo
	s_or_b32 s9, s4, s3
.LBB4_18:
	s_or_b32 exec_lo, exec_lo, s10
	s_delay_alu instid0(SALU_CYCLE_1)
	s_or_not1_b32 s3, s9, exec_lo
.LBB4_19:
	s_or_b32 exec_lo, exec_lo, s19
	s_delay_alu instid0(SALU_CYCLE_1) | instskip(SKIP_1) | instid1(SALU_CYCLE_1)
	s_and_not1_b32 s2, s2, exec_lo
	s_and_b32 s3, s3, exec_lo
	s_or_b32 s2, s2, s3
.LBB4_20:
	s_or_b32 exec_lo, exec_lo, s18
	s_delay_alu instid0(SALU_CYCLE_1) | instskip(SKIP_1) | instid1(SALU_CYCLE_1)
	s_and_not1_b32 s3, s16, exec_lo
	s_and_b32 s2, s2, exec_lo
	s_or_b32 s16, s3, s2
.LBB4_21:
	s_or_b32 exec_lo, exec_lo, s17
	s_delay_alu instid0(SALU_CYCLE_1) | instskip(SKIP_1) | instid1(SALU_CYCLE_1)
	s_and_not1_b32 s2, s5, exec_lo
	s_and_b32 s3, s16, exec_lo
	s_or_b32 s5, s2, s3
.LBB4_22:
	s_or_b32 exec_lo, exec_lo, s8
	s_delay_alu instid0(SALU_CYCLE_1)
	s_and_b32 exec_lo, exec_lo, s5
	s_cbranch_execz .LBB4_24
; %bb.23:
	s_load_b64 s[0:1], s[0:1], 0x40
	v_mov_b32_e32 v0, 0
	s_wait_kmcnt 0x0
	global_store_b32 v0, v10, s[0:1]
.LBB4_24:
	s_endpgm
	.section	.rodata,"a",@progbits
	.p2align	6, 0x0
	.amdhsa_kernel _ZN9rocsparseL23check_matrix_coo_deviceILj256EfllEEvT2_S1_lPKT0_PKT1_PKS1_21rocsparse_index_base_22rocsparse_matrix_type_20rocsparse_fill_mode_23rocsparse_storage_mode_P22rocsparse_data_status_
		.amdhsa_group_segment_fixed_size 0
		.amdhsa_private_segment_fixed_size 0
		.amdhsa_kernarg_size 72
		.amdhsa_user_sgpr_count 2
		.amdhsa_user_sgpr_dispatch_ptr 0
		.amdhsa_user_sgpr_queue_ptr 0
		.amdhsa_user_sgpr_kernarg_segment_ptr 1
		.amdhsa_user_sgpr_dispatch_id 0
		.amdhsa_user_sgpr_kernarg_preload_length 0
		.amdhsa_user_sgpr_kernarg_preload_offset 0
		.amdhsa_user_sgpr_private_segment_size 0
		.amdhsa_wavefront_size32 1
		.amdhsa_uses_dynamic_stack 0
		.amdhsa_enable_private_segment 0
		.amdhsa_system_sgpr_workgroup_id_x 1
		.amdhsa_system_sgpr_workgroup_id_y 0
		.amdhsa_system_sgpr_workgroup_id_z 0
		.amdhsa_system_sgpr_workgroup_info 0
		.amdhsa_system_vgpr_workitem_id 0
		.amdhsa_next_free_vgpr 12
		.amdhsa_next_free_sgpr 21
		.amdhsa_named_barrier_count 0
		.amdhsa_reserve_vcc 1
		.amdhsa_float_round_mode_32 0
		.amdhsa_float_round_mode_16_64 0
		.amdhsa_float_denorm_mode_32 3
		.amdhsa_float_denorm_mode_16_64 3
		.amdhsa_fp16_overflow 0
		.amdhsa_memory_ordered 1
		.amdhsa_forward_progress 1
		.amdhsa_inst_pref_size 7
		.amdhsa_round_robin_scheduling 0
		.amdhsa_exception_fp_ieee_invalid_op 0
		.amdhsa_exception_fp_denorm_src 0
		.amdhsa_exception_fp_ieee_div_zero 0
		.amdhsa_exception_fp_ieee_overflow 0
		.amdhsa_exception_fp_ieee_underflow 0
		.amdhsa_exception_fp_ieee_inexact 0
		.amdhsa_exception_int_div_zero 0
	.end_amdhsa_kernel
	.section	.text._ZN9rocsparseL23check_matrix_coo_deviceILj256EfllEEvT2_S1_lPKT0_PKT1_PKS1_21rocsparse_index_base_22rocsparse_matrix_type_20rocsparse_fill_mode_23rocsparse_storage_mode_P22rocsparse_data_status_,"axG",@progbits,_ZN9rocsparseL23check_matrix_coo_deviceILj256EfllEEvT2_S1_lPKT0_PKT1_PKS1_21rocsparse_index_base_22rocsparse_matrix_type_20rocsparse_fill_mode_23rocsparse_storage_mode_P22rocsparse_data_status_,comdat
.Lfunc_end4:
	.size	_ZN9rocsparseL23check_matrix_coo_deviceILj256EfllEEvT2_S1_lPKT0_PKT1_PKS1_21rocsparse_index_base_22rocsparse_matrix_type_20rocsparse_fill_mode_23rocsparse_storage_mode_P22rocsparse_data_status_, .Lfunc_end4-_ZN9rocsparseL23check_matrix_coo_deviceILj256EfllEEvT2_S1_lPKT0_PKT1_PKS1_21rocsparse_index_base_22rocsparse_matrix_type_20rocsparse_fill_mode_23rocsparse_storage_mode_P22rocsparse_data_status_
                                        ; -- End function
	.set _ZN9rocsparseL23check_matrix_coo_deviceILj256EfllEEvT2_S1_lPKT0_PKT1_PKS1_21rocsparse_index_base_22rocsparse_matrix_type_20rocsparse_fill_mode_23rocsparse_storage_mode_P22rocsparse_data_status_.num_vgpr, 12
	.set _ZN9rocsparseL23check_matrix_coo_deviceILj256EfllEEvT2_S1_lPKT0_PKT1_PKS1_21rocsparse_index_base_22rocsparse_matrix_type_20rocsparse_fill_mode_23rocsparse_storage_mode_P22rocsparse_data_status_.num_agpr, 0
	.set _ZN9rocsparseL23check_matrix_coo_deviceILj256EfllEEvT2_S1_lPKT0_PKT1_PKS1_21rocsparse_index_base_22rocsparse_matrix_type_20rocsparse_fill_mode_23rocsparse_storage_mode_P22rocsparse_data_status_.numbered_sgpr, 21
	.set _ZN9rocsparseL23check_matrix_coo_deviceILj256EfllEEvT2_S1_lPKT0_PKT1_PKS1_21rocsparse_index_base_22rocsparse_matrix_type_20rocsparse_fill_mode_23rocsparse_storage_mode_P22rocsparse_data_status_.num_named_barrier, 0
	.set _ZN9rocsparseL23check_matrix_coo_deviceILj256EfllEEvT2_S1_lPKT0_PKT1_PKS1_21rocsparse_index_base_22rocsparse_matrix_type_20rocsparse_fill_mode_23rocsparse_storage_mode_P22rocsparse_data_status_.private_seg_size, 0
	.set _ZN9rocsparseL23check_matrix_coo_deviceILj256EfllEEvT2_S1_lPKT0_PKT1_PKS1_21rocsparse_index_base_22rocsparse_matrix_type_20rocsparse_fill_mode_23rocsparse_storage_mode_P22rocsparse_data_status_.uses_vcc, 1
	.set _ZN9rocsparseL23check_matrix_coo_deviceILj256EfllEEvT2_S1_lPKT0_PKT1_PKS1_21rocsparse_index_base_22rocsparse_matrix_type_20rocsparse_fill_mode_23rocsparse_storage_mode_P22rocsparse_data_status_.uses_flat_scratch, 0
	.set _ZN9rocsparseL23check_matrix_coo_deviceILj256EfllEEvT2_S1_lPKT0_PKT1_PKS1_21rocsparse_index_base_22rocsparse_matrix_type_20rocsparse_fill_mode_23rocsparse_storage_mode_P22rocsparse_data_status_.has_dyn_sized_stack, 0
	.set _ZN9rocsparseL23check_matrix_coo_deviceILj256EfllEEvT2_S1_lPKT0_PKT1_PKS1_21rocsparse_index_base_22rocsparse_matrix_type_20rocsparse_fill_mode_23rocsparse_storage_mode_P22rocsparse_data_status_.has_recursion, 0
	.set _ZN9rocsparseL23check_matrix_coo_deviceILj256EfllEEvT2_S1_lPKT0_PKT1_PKS1_21rocsparse_index_base_22rocsparse_matrix_type_20rocsparse_fill_mode_23rocsparse_storage_mode_P22rocsparse_data_status_.has_indirect_call, 0
	.section	.AMDGPU.csdata,"",@progbits
; Kernel info:
; codeLenInByte = 792
; TotalNumSgprs: 23
; NumVgprs: 12
; ScratchSize: 0
; MemoryBound: 0
; FloatMode: 240
; IeeeMode: 1
; LDSByteSize: 0 bytes/workgroup (compile time only)
; SGPRBlocks: 0
; VGPRBlocks: 0
; NumSGPRsForWavesPerEU: 23
; NumVGPRsForWavesPerEU: 12
; NamedBarCnt: 0
; Occupancy: 16
; WaveLimiterHint : 0
; COMPUTE_PGM_RSRC2:SCRATCH_EN: 0
; COMPUTE_PGM_RSRC2:USER_SGPR: 2
; COMPUTE_PGM_RSRC2:TRAP_HANDLER: 0
; COMPUTE_PGM_RSRC2:TGID_X_EN: 1
; COMPUTE_PGM_RSRC2:TGID_Y_EN: 0
; COMPUTE_PGM_RSRC2:TGID_Z_EN: 0
; COMPUTE_PGM_RSRC2:TIDIG_COMP_CNT: 0
	.section	.text._ZN9rocsparseL23check_matrix_coo_deviceILj256EdllEEvT2_S1_lPKT0_PKT1_PKS1_21rocsparse_index_base_22rocsparse_matrix_type_20rocsparse_fill_mode_23rocsparse_storage_mode_P22rocsparse_data_status_,"axG",@progbits,_ZN9rocsparseL23check_matrix_coo_deviceILj256EdllEEvT2_S1_lPKT0_PKT1_PKS1_21rocsparse_index_base_22rocsparse_matrix_type_20rocsparse_fill_mode_23rocsparse_storage_mode_P22rocsparse_data_status_,comdat
	.globl	_ZN9rocsparseL23check_matrix_coo_deviceILj256EdllEEvT2_S1_lPKT0_PKT1_PKS1_21rocsparse_index_base_22rocsparse_matrix_type_20rocsparse_fill_mode_23rocsparse_storage_mode_P22rocsparse_data_status_ ; -- Begin function _ZN9rocsparseL23check_matrix_coo_deviceILj256EdllEEvT2_S1_lPKT0_PKT1_PKS1_21rocsparse_index_base_22rocsparse_matrix_type_20rocsparse_fill_mode_23rocsparse_storage_mode_P22rocsparse_data_status_
	.p2align	8
	.type	_ZN9rocsparseL23check_matrix_coo_deviceILj256EdllEEvT2_S1_lPKT0_PKT1_PKS1_21rocsparse_index_base_22rocsparse_matrix_type_20rocsparse_fill_mode_23rocsparse_storage_mode_P22rocsparse_data_status_,@function
_ZN9rocsparseL23check_matrix_coo_deviceILj256EdllEEvT2_S1_lPKT0_PKT1_PKS1_21rocsparse_index_base_22rocsparse_matrix_type_20rocsparse_fill_mode_23rocsparse_storage_mode_P22rocsparse_data_status_: ; @_ZN9rocsparseL23check_matrix_coo_deviceILj256EdllEEvT2_S1_lPKT0_PKT1_PKS1_21rocsparse_index_base_22rocsparse_matrix_type_20rocsparse_fill_mode_23rocsparse_storage_mode_P22rocsparse_data_status_
; %bb.0:
	s_load_b64 s[14:15], s[0:1], 0x10
	s_bfe_u32 s2, ttmp6, 0x4000c
	s_and_b32 s3, ttmp6, 15
	s_add_co_i32 s2, s2, 1
	s_getreg_b32 s4, hwreg(HW_REG_IB_STS2, 6, 4)
	s_mul_i32 s2, ttmp9, s2
	v_mov_b32_e32 v1, 0
	s_add_co_i32 s3, s3, s2
	s_cmp_eq_u32 s4, 0
	s_mov_b32 s13, 0
	s_cselect_b32 s2, ttmp9, s3
	s_delay_alu instid0(SALU_CYCLE_1) | instskip(SKIP_2) | instid1(VALU_DEP_1)
	v_lshl_or_b32 v0, s2, 8, v0
	s_mov_b32 s2, exec_lo
	s_wait_kmcnt 0x0
	v_cmpx_gt_i64_e64 s[14:15], v[0:1]
	s_cbranch_execz .LBB5_24
; %bb.1:
	s_load_b64 s[2:3], s[0:1], 0x20
	v_mov_b32_e32 v12, 4
	s_wait_kmcnt 0x0
	v_lshl_add_u64 v[2:3], v[0:1], 3, s[2:3]
	global_load_b64 v[4:5], v[2:3], off
	s_clause 0x1
	s_load_b128 s[8:11], s[0:1], 0x30
	s_load_b128 s[4:7], s[0:1], 0x0
	s_wait_kmcnt 0x0
	s_mov_b32 s12, s8
	s_wait_loadcnt 0x0
	v_sub_nc_u64_e64 v[6:7], v[4:5], s[12:13]
	s_delay_alu instid0(VALU_DEP_1) | instskip(SKIP_2) | instid1(SALU_CYCLE_1)
	v_cmp_lt_i64_e32 vcc_lo, -1, v[6:7]
	v_cmp_gt_i64_e64 s2, s[4:5], v[6:7]
	s_and_b32 s2, vcc_lo, s2
	s_xor_b32 s5, s2, -1
	s_and_saveexec_b32 s8, s2
	s_cbranch_execz .LBB5_22
; %bb.2:
	s_load_b64 s[2:3], s[0:1], 0x28
	v_mov_b32_e32 v12, 4
	s_wait_kmcnt 0x0
	v_lshl_add_u64 v[8:9], v[0:1], 3, s[2:3]
	global_load_b64 v[6:7], v[8:9], off
	s_wait_loadcnt 0x0
	v_sub_nc_u64_e64 v[10:11], v[6:7], s[12:13]
	s_delay_alu instid0(VALU_DEP_1) | instskip(SKIP_2) | instid1(SALU_CYCLE_1)
	v_cmp_lt_i64_e32 vcc_lo, -1, v[10:11]
	v_cmp_gt_i64_e64 s2, s[6:7], v[10:11]
	s_and_b32 s2, vcc_lo, s2
	s_xor_b32 s16, s2, -1
	s_and_saveexec_b32 s17, s2
	s_cbranch_execz .LBB5_21
; %bb.3:
	s_load_b64 s[2:3], s[0:1], 0x18
	v_mov_b32_e32 v12, 1
	s_mov_b32 s18, exec_lo
	s_wait_kmcnt 0x0
	v_lshl_add_u64 v[10:11], v[0:1], 3, s[2:3]
	global_load_b64 v[10:11], v[10:11], off
	s_wait_loadcnt 0x0
	v_cmp_eq_f64_e64 s2, 0x7ff00000, v[10:11]
	v_cmpx_neq_f64_e32 0x7ff00000, v[10:11]
	s_cbranch_execz .LBB5_20
; %bb.4:
	v_mov_b32_e32 v12, 2
	s_mov_b32 s3, -1
	s_mov_b32 s19, exec_lo
	v_cmpx_o_f64_e32 v[10:11], v[10:11]
	s_cbranch_execz .LBB5_19
; %bb.5:
	s_cmp_lg_u32 s9, 0
	s_mov_b32 s20, 0
	s_cbranch_scc0 .LBB5_8
; %bb.6:
	s_cmp_lg_u32 s10, 0
	s_mov_b32 s3, 0
	s_cbranch_scc0 .LBB5_9
; %bb.7:
	v_cmp_le_i64_e32 vcc_lo, v[4:5], v[6:7]
	s_mov_b32 s9, -1
	s_mov_b32 s4, 7
	s_and_b32 s20, vcc_lo, exec_lo
	s_branch .LBB5_10
.LBB5_8:
	s_mov_b32 s20, -1
	s_mov_b32 s9, 0
	s_mov_b32 s4, 2
	s_branch .LBB5_12
.LBB5_9:
	s_mov_b32 s3, -1
	s_mov_b32 s4, 2
	s_mov_b32 s9, 0
.LBB5_10:
	s_and_not1_b32 vcc_lo, exec_lo, s3
	s_cbranch_vccnz .LBB5_12
; %bb.11:
	v_cmp_lt_i64_e32 vcc_lo, v[4:5], v[6:7]
	v_cmp_ge_i64_e64 s3, v[4:5], v[6:7]
	s_and_not1_b32 s9, s9, exec_lo
	s_and_not1_b32 s10, s20, exec_lo
	s_mov_b32 s4, 7
	s_and_b32 s20, vcc_lo, exec_lo
	s_and_b32 s3, s3, exec_lo
	s_or_b32 s9, s9, s20
	s_or_b32 s20, s10, s3
.LBB5_12:
	v_mov_b32_e32 v12, s4
	s_and_saveexec_b32 s10, s20
	s_cbranch_execz .LBB5_18
; %bb.13:
	s_add_nc_u64 s[14:15], s[14:15], -1
	s_cmp_eq_u32 s11, 0
	v_cmp_gt_u64_e32 vcc_lo, s[14:15], v[0:1]
	v_mov_b32_e32 v12, s4
	s_cselect_b32 s11, -1, 0
	s_mov_b32 s3, 0
	s_and_b32 s14, s11, vcc_lo
	s_delay_alu instid0(SALU_CYCLE_1)
	s_and_saveexec_b32 s11, s14
	s_cbranch_execz .LBB5_17
; %bb.14:
	global_load_b64 v[0:1], v[2:3], off offset:8
	v_mov_b32_e32 v12, s4
	s_mov_b32 s14, exec_lo
	s_wait_loadcnt 0x0
	v_cmpx_eq_u64_e64 v[4:5], v[0:1]
	s_cbranch_execz .LBB5_16
; %bb.15:
	global_load_b64 v[0:1], v[8:9], off offset:8
	v_mov_b32_e32 v12, 6
	s_wait_loadcnt 0x0
	v_sub_nc_u64_e64 v[2:3], v[0:1], s[12:13]
	v_cmp_gt_i64_e64 s4, v[6:7], v[0:1]
	s_delay_alu instid0(VALU_DEP_2) | instskip(SKIP_2) | instid1(SALU_CYCLE_1)
	v_cmp_lt_i64_e32 vcc_lo, -1, v[2:3]
	v_cmp_gt_i64_e64 s3, s[6:7], v[2:3]
	s_and_b32 s3, vcc_lo, s3
	s_and_b32 s3, s4, s3
	s_delay_alu instid0(SALU_CYCLE_1)
	s_and_b32 s3, s3, exec_lo
.LBB5_16:
	s_or_b32 exec_lo, exec_lo, s14
	s_delay_alu instid0(SALU_CYCLE_1)
	s_and_b32 s3, s3, exec_lo
.LBB5_17:
	s_or_b32 exec_lo, exec_lo, s11
	s_delay_alu instid0(SALU_CYCLE_1) | instskip(SKIP_1) | instid1(SALU_CYCLE_1)
	s_and_not1_b32 s4, s9, exec_lo
	s_and_b32 s3, s3, exec_lo
	s_or_b32 s9, s4, s3
.LBB5_18:
	s_or_b32 exec_lo, exec_lo, s10
	s_delay_alu instid0(SALU_CYCLE_1)
	s_or_not1_b32 s3, s9, exec_lo
.LBB5_19:
	s_or_b32 exec_lo, exec_lo, s19
	s_delay_alu instid0(SALU_CYCLE_1) | instskip(SKIP_1) | instid1(SALU_CYCLE_1)
	s_and_not1_b32 s2, s2, exec_lo
	s_and_b32 s3, s3, exec_lo
	s_or_b32 s2, s2, s3
.LBB5_20:
	s_or_b32 exec_lo, exec_lo, s18
	s_delay_alu instid0(SALU_CYCLE_1) | instskip(SKIP_1) | instid1(SALU_CYCLE_1)
	s_and_not1_b32 s3, s16, exec_lo
	s_and_b32 s2, s2, exec_lo
	s_or_b32 s16, s3, s2
.LBB5_21:
	s_or_b32 exec_lo, exec_lo, s17
	s_delay_alu instid0(SALU_CYCLE_1) | instskip(SKIP_1) | instid1(SALU_CYCLE_1)
	s_and_not1_b32 s2, s5, exec_lo
	s_and_b32 s3, s16, exec_lo
	s_or_b32 s5, s2, s3
.LBB5_22:
	s_or_b32 exec_lo, exec_lo, s8
	s_delay_alu instid0(SALU_CYCLE_1)
	s_and_b32 exec_lo, exec_lo, s5
	s_cbranch_execz .LBB5_24
; %bb.23:
	s_load_b64 s[0:1], s[0:1], 0x40
	v_mov_b32_e32 v0, 0
	s_wait_kmcnt 0x0
	global_store_b32 v0, v12, s[0:1]
.LBB5_24:
	s_endpgm
	.section	.rodata,"a",@progbits
	.p2align	6, 0x0
	.amdhsa_kernel _ZN9rocsparseL23check_matrix_coo_deviceILj256EdllEEvT2_S1_lPKT0_PKT1_PKS1_21rocsparse_index_base_22rocsparse_matrix_type_20rocsparse_fill_mode_23rocsparse_storage_mode_P22rocsparse_data_status_
		.amdhsa_group_segment_fixed_size 0
		.amdhsa_private_segment_fixed_size 0
		.amdhsa_kernarg_size 72
		.amdhsa_user_sgpr_count 2
		.amdhsa_user_sgpr_dispatch_ptr 0
		.amdhsa_user_sgpr_queue_ptr 0
		.amdhsa_user_sgpr_kernarg_segment_ptr 1
		.amdhsa_user_sgpr_dispatch_id 0
		.amdhsa_user_sgpr_kernarg_preload_length 0
		.amdhsa_user_sgpr_kernarg_preload_offset 0
		.amdhsa_user_sgpr_private_segment_size 0
		.amdhsa_wavefront_size32 1
		.amdhsa_uses_dynamic_stack 0
		.amdhsa_enable_private_segment 0
		.amdhsa_system_sgpr_workgroup_id_x 1
		.amdhsa_system_sgpr_workgroup_id_y 0
		.amdhsa_system_sgpr_workgroup_id_z 0
		.amdhsa_system_sgpr_workgroup_info 0
		.amdhsa_system_vgpr_workitem_id 0
		.amdhsa_next_free_vgpr 13
		.amdhsa_next_free_sgpr 21
		.amdhsa_named_barrier_count 0
		.amdhsa_reserve_vcc 1
		.amdhsa_float_round_mode_32 0
		.amdhsa_float_round_mode_16_64 0
		.amdhsa_float_denorm_mode_32 3
		.amdhsa_float_denorm_mode_16_64 3
		.amdhsa_fp16_overflow 0
		.amdhsa_memory_ordered 1
		.amdhsa_forward_progress 1
		.amdhsa_inst_pref_size 7
		.amdhsa_round_robin_scheduling 0
		.amdhsa_exception_fp_ieee_invalid_op 0
		.amdhsa_exception_fp_denorm_src 0
		.amdhsa_exception_fp_ieee_div_zero 0
		.amdhsa_exception_fp_ieee_overflow 0
		.amdhsa_exception_fp_ieee_underflow 0
		.amdhsa_exception_fp_ieee_inexact 0
		.amdhsa_exception_int_div_zero 0
	.end_amdhsa_kernel
	.section	.text._ZN9rocsparseL23check_matrix_coo_deviceILj256EdllEEvT2_S1_lPKT0_PKT1_PKS1_21rocsparse_index_base_22rocsparse_matrix_type_20rocsparse_fill_mode_23rocsparse_storage_mode_P22rocsparse_data_status_,"axG",@progbits,_ZN9rocsparseL23check_matrix_coo_deviceILj256EdllEEvT2_S1_lPKT0_PKT1_PKS1_21rocsparse_index_base_22rocsparse_matrix_type_20rocsparse_fill_mode_23rocsparse_storage_mode_P22rocsparse_data_status_,comdat
.Lfunc_end5:
	.size	_ZN9rocsparseL23check_matrix_coo_deviceILj256EdllEEvT2_S1_lPKT0_PKT1_PKS1_21rocsparse_index_base_22rocsparse_matrix_type_20rocsparse_fill_mode_23rocsparse_storage_mode_P22rocsparse_data_status_, .Lfunc_end5-_ZN9rocsparseL23check_matrix_coo_deviceILj256EdllEEvT2_S1_lPKT0_PKT1_PKS1_21rocsparse_index_base_22rocsparse_matrix_type_20rocsparse_fill_mode_23rocsparse_storage_mode_P22rocsparse_data_status_
                                        ; -- End function
	.set _ZN9rocsparseL23check_matrix_coo_deviceILj256EdllEEvT2_S1_lPKT0_PKT1_PKS1_21rocsparse_index_base_22rocsparse_matrix_type_20rocsparse_fill_mode_23rocsparse_storage_mode_P22rocsparse_data_status_.num_vgpr, 13
	.set _ZN9rocsparseL23check_matrix_coo_deviceILj256EdllEEvT2_S1_lPKT0_PKT1_PKS1_21rocsparse_index_base_22rocsparse_matrix_type_20rocsparse_fill_mode_23rocsparse_storage_mode_P22rocsparse_data_status_.num_agpr, 0
	.set _ZN9rocsparseL23check_matrix_coo_deviceILj256EdllEEvT2_S1_lPKT0_PKT1_PKS1_21rocsparse_index_base_22rocsparse_matrix_type_20rocsparse_fill_mode_23rocsparse_storage_mode_P22rocsparse_data_status_.numbered_sgpr, 21
	.set _ZN9rocsparseL23check_matrix_coo_deviceILj256EdllEEvT2_S1_lPKT0_PKT1_PKS1_21rocsparse_index_base_22rocsparse_matrix_type_20rocsparse_fill_mode_23rocsparse_storage_mode_P22rocsparse_data_status_.num_named_barrier, 0
	.set _ZN9rocsparseL23check_matrix_coo_deviceILj256EdllEEvT2_S1_lPKT0_PKT1_PKS1_21rocsparse_index_base_22rocsparse_matrix_type_20rocsparse_fill_mode_23rocsparse_storage_mode_P22rocsparse_data_status_.private_seg_size, 0
	.set _ZN9rocsparseL23check_matrix_coo_deviceILj256EdllEEvT2_S1_lPKT0_PKT1_PKS1_21rocsparse_index_base_22rocsparse_matrix_type_20rocsparse_fill_mode_23rocsparse_storage_mode_P22rocsparse_data_status_.uses_vcc, 1
	.set _ZN9rocsparseL23check_matrix_coo_deviceILj256EdllEEvT2_S1_lPKT0_PKT1_PKS1_21rocsparse_index_base_22rocsparse_matrix_type_20rocsparse_fill_mode_23rocsparse_storage_mode_P22rocsparse_data_status_.uses_flat_scratch, 0
	.set _ZN9rocsparseL23check_matrix_coo_deviceILj256EdllEEvT2_S1_lPKT0_PKT1_PKS1_21rocsparse_index_base_22rocsparse_matrix_type_20rocsparse_fill_mode_23rocsparse_storage_mode_P22rocsparse_data_status_.has_dyn_sized_stack, 0
	.set _ZN9rocsparseL23check_matrix_coo_deviceILj256EdllEEvT2_S1_lPKT0_PKT1_PKS1_21rocsparse_index_base_22rocsparse_matrix_type_20rocsparse_fill_mode_23rocsparse_storage_mode_P22rocsparse_data_status_.has_recursion, 0
	.set _ZN9rocsparseL23check_matrix_coo_deviceILj256EdllEEvT2_S1_lPKT0_PKT1_PKS1_21rocsparse_index_base_22rocsparse_matrix_type_20rocsparse_fill_mode_23rocsparse_storage_mode_P22rocsparse_data_status_.has_indirect_call, 0
	.section	.AMDGPU.csdata,"",@progbits
; Kernel info:
; codeLenInByte = 788
; TotalNumSgprs: 23
; NumVgprs: 13
; ScratchSize: 0
; MemoryBound: 0
; FloatMode: 240
; IeeeMode: 1
; LDSByteSize: 0 bytes/workgroup (compile time only)
; SGPRBlocks: 0
; VGPRBlocks: 0
; NumSGPRsForWavesPerEU: 23
; NumVGPRsForWavesPerEU: 13
; NamedBarCnt: 0
; Occupancy: 16
; WaveLimiterHint : 0
; COMPUTE_PGM_RSRC2:SCRATCH_EN: 0
; COMPUTE_PGM_RSRC2:USER_SGPR: 2
; COMPUTE_PGM_RSRC2:TRAP_HANDLER: 0
; COMPUTE_PGM_RSRC2:TGID_X_EN: 1
; COMPUTE_PGM_RSRC2:TGID_Y_EN: 0
; COMPUTE_PGM_RSRC2:TGID_Z_EN: 0
; COMPUTE_PGM_RSRC2:TIDIG_COMP_CNT: 0
	.section	.text._ZN9rocsparseL23check_matrix_coo_deviceILj256E21rocsparse_complex_numIfEllEEvT2_S3_lPKT0_PKT1_PKS3_21rocsparse_index_base_22rocsparse_matrix_type_20rocsparse_fill_mode_23rocsparse_storage_mode_P22rocsparse_data_status_,"axG",@progbits,_ZN9rocsparseL23check_matrix_coo_deviceILj256E21rocsparse_complex_numIfEllEEvT2_S3_lPKT0_PKT1_PKS3_21rocsparse_index_base_22rocsparse_matrix_type_20rocsparse_fill_mode_23rocsparse_storage_mode_P22rocsparse_data_status_,comdat
	.globl	_ZN9rocsparseL23check_matrix_coo_deviceILj256E21rocsparse_complex_numIfEllEEvT2_S3_lPKT0_PKT1_PKS3_21rocsparse_index_base_22rocsparse_matrix_type_20rocsparse_fill_mode_23rocsparse_storage_mode_P22rocsparse_data_status_ ; -- Begin function _ZN9rocsparseL23check_matrix_coo_deviceILj256E21rocsparse_complex_numIfEllEEvT2_S3_lPKT0_PKT1_PKS3_21rocsparse_index_base_22rocsparse_matrix_type_20rocsparse_fill_mode_23rocsparse_storage_mode_P22rocsparse_data_status_
	.p2align	8
	.type	_ZN9rocsparseL23check_matrix_coo_deviceILj256E21rocsparse_complex_numIfEllEEvT2_S3_lPKT0_PKT1_PKS3_21rocsparse_index_base_22rocsparse_matrix_type_20rocsparse_fill_mode_23rocsparse_storage_mode_P22rocsparse_data_status_,@function
_ZN9rocsparseL23check_matrix_coo_deviceILj256E21rocsparse_complex_numIfEllEEvT2_S3_lPKT0_PKT1_PKS3_21rocsparse_index_base_22rocsparse_matrix_type_20rocsparse_fill_mode_23rocsparse_storage_mode_P22rocsparse_data_status_: ; @_ZN9rocsparseL23check_matrix_coo_deviceILj256E21rocsparse_complex_numIfEllEEvT2_S3_lPKT0_PKT1_PKS3_21rocsparse_index_base_22rocsparse_matrix_type_20rocsparse_fill_mode_23rocsparse_storage_mode_P22rocsparse_data_status_
; %bb.0:
	s_load_b64 s[14:15], s[0:1], 0x10
	s_bfe_u32 s2, ttmp6, 0x4000c
	s_and_b32 s3, ttmp6, 15
	s_add_co_i32 s2, s2, 1
	s_getreg_b32 s4, hwreg(HW_REG_IB_STS2, 6, 4)
	s_mul_i32 s2, ttmp9, s2
	v_mov_b32_e32 v1, 0
	s_add_co_i32 s3, s3, s2
	s_cmp_eq_u32 s4, 0
	s_mov_b32 s13, 0
	s_cselect_b32 s2, ttmp9, s3
	s_delay_alu instid0(SALU_CYCLE_1) | instskip(SKIP_2) | instid1(VALU_DEP_1)
	v_lshl_or_b32 v0, s2, 8, v0
	s_mov_b32 s2, exec_lo
	s_wait_kmcnt 0x0
	v_cmpx_gt_i64_e64 s[14:15], v[0:1]
	s_cbranch_execz .LBB6_24
; %bb.1:
	s_load_b64 s[2:3], s[0:1], 0x20
	v_mov_b32_e32 v12, 4
	s_wait_kmcnt 0x0
	v_lshl_add_u64 v[2:3], v[0:1], 3, s[2:3]
	global_load_b64 v[4:5], v[2:3], off
	s_clause 0x1
	s_load_b128 s[8:11], s[0:1], 0x30
	s_load_b128 s[4:7], s[0:1], 0x0
	s_wait_kmcnt 0x0
	s_mov_b32 s12, s8
	s_wait_loadcnt 0x0
	v_sub_nc_u64_e64 v[6:7], v[4:5], s[12:13]
	s_delay_alu instid0(VALU_DEP_1) | instskip(SKIP_2) | instid1(SALU_CYCLE_1)
	v_cmp_lt_i64_e32 vcc_lo, -1, v[6:7]
	v_cmp_gt_i64_e64 s2, s[4:5], v[6:7]
	s_and_b32 s2, vcc_lo, s2
	s_xor_b32 s4, s2, -1
	s_and_saveexec_b32 s5, s2
	s_cbranch_execz .LBB6_22
; %bb.2:
	s_load_b64 s[2:3], s[0:1], 0x28
	v_mov_b32_e32 v12, 4
	s_wait_kmcnt 0x0
	v_lshl_add_u64 v[8:9], v[0:1], 3, s[2:3]
	global_load_b64 v[6:7], v[8:9], off
	s_wait_loadcnt 0x0
	v_sub_nc_u64_e64 v[10:11], v[6:7], s[12:13]
	s_delay_alu instid0(VALU_DEP_1) | instskip(SKIP_2) | instid1(SALU_CYCLE_1)
	v_cmp_lt_i64_e32 vcc_lo, -1, v[10:11]
	v_cmp_gt_i64_e64 s2, s[6:7], v[10:11]
	s_and_b32 s2, vcc_lo, s2
	s_xor_b32 s8, s2, -1
	s_and_saveexec_b32 s16, s2
	s_cbranch_execz .LBB6_21
; %bb.3:
	s_load_b64 s[2:3], s[0:1], 0x18
	v_mov_b32_e32 v12, 1
	s_wait_kmcnt 0x0
	v_lshl_add_u64 v[10:11], v[0:1], 3, s[2:3]
	global_load_b64 v[10:11], v[10:11], off
	s_wait_loadcnt 0x0
	v_cmp_eq_f32_e32 vcc_lo, 0x7f800000, v10
	v_cmp_eq_f32_e64 s2, 0x7f800000, v11
	s_or_b32 s17, vcc_lo, s2
	s_mov_b32 s2, -1
	s_xor_b32 s3, s17, -1
	s_delay_alu instid0(SALU_CYCLE_1)
	s_and_saveexec_b32 s18, s3
	s_cbranch_execz .LBB6_20
; %bb.4:
	v_mov_b32_e32 v12, 2
	s_mov_b32 s19, exec_lo
	v_cmpx_o_f32_e32 v10, v11
	s_cbranch_execz .LBB6_19
; %bb.5:
	s_cmp_lg_u32 s9, 0
	s_mov_b32 s20, 0
	s_cbranch_scc0 .LBB6_8
; %bb.6:
	s_cmp_lg_u32 s10, 0
	s_mov_b32 s2, 0
	s_cbranch_scc0 .LBB6_9
; %bb.7:
	v_cmp_le_i64_e32 vcc_lo, v[4:5], v[6:7]
	s_mov_b32 s9, -1
	s_mov_b32 s3, 7
	s_and_b32 s20, vcc_lo, exec_lo
	s_branch .LBB6_10
.LBB6_8:
	s_mov_b32 s20, -1
	s_mov_b32 s9, 0
	s_mov_b32 s3, 2
	s_branch .LBB6_12
.LBB6_9:
	s_mov_b32 s2, -1
	s_mov_b32 s3, 2
	s_mov_b32 s9, 0
.LBB6_10:
	s_and_not1_b32 vcc_lo, exec_lo, s2
	s_cbranch_vccnz .LBB6_12
; %bb.11:
	v_cmp_lt_i64_e32 vcc_lo, v[4:5], v[6:7]
	v_cmp_ge_i64_e64 s2, v[4:5], v[6:7]
	s_and_not1_b32 s9, s9, exec_lo
	s_and_not1_b32 s10, s20, exec_lo
	s_mov_b32 s3, 7
	s_and_b32 s20, vcc_lo, exec_lo
	s_and_b32 s2, s2, exec_lo
	s_or_b32 s9, s9, s20
	s_or_b32 s20, s10, s2
.LBB6_12:
	v_mov_b32_e32 v12, s3
	s_and_saveexec_b32 s10, s20
	s_cbranch_execz .LBB6_18
; %bb.13:
	s_add_nc_u64 s[14:15], s[14:15], -1
	s_cmp_eq_u32 s11, 0
	v_cmp_gt_u64_e32 vcc_lo, s[14:15], v[0:1]
	v_mov_b32_e32 v12, s3
	s_cselect_b32 s11, -1, 0
	s_mov_b32 s2, 0
	s_and_b32 s14, s11, vcc_lo
	s_delay_alu instid0(SALU_CYCLE_1)
	s_and_saveexec_b32 s11, s14
	s_cbranch_execz .LBB6_17
; %bb.14:
	global_load_b64 v[0:1], v[2:3], off offset:8
	v_mov_b32_e32 v12, s3
	s_mov_b32 s14, exec_lo
	s_wait_loadcnt 0x0
	v_cmpx_eq_u64_e64 v[4:5], v[0:1]
	s_cbranch_execz .LBB6_16
; %bb.15:
	global_load_b64 v[0:1], v[8:9], off offset:8
	v_mov_b32_e32 v12, 6
	s_wait_loadcnt 0x0
	v_sub_nc_u64_e64 v[2:3], v[0:1], s[12:13]
	v_cmp_gt_i64_e64 s3, v[6:7], v[0:1]
	s_delay_alu instid0(VALU_DEP_2) | instskip(SKIP_2) | instid1(SALU_CYCLE_1)
	v_cmp_lt_i64_e32 vcc_lo, -1, v[2:3]
	v_cmp_gt_i64_e64 s2, s[6:7], v[2:3]
	s_and_b32 s2, vcc_lo, s2
	s_and_b32 s2, s3, s2
	s_delay_alu instid0(SALU_CYCLE_1)
	s_and_b32 s2, s2, exec_lo
.LBB6_16:
	s_or_b32 exec_lo, exec_lo, s14
	s_delay_alu instid0(SALU_CYCLE_1)
	s_and_b32 s2, s2, exec_lo
.LBB6_17:
	s_or_b32 exec_lo, exec_lo, s11
	s_delay_alu instid0(SALU_CYCLE_1) | instskip(SKIP_1) | instid1(SALU_CYCLE_1)
	s_and_not1_b32 s3, s9, exec_lo
	s_and_b32 s2, s2, exec_lo
	s_or_b32 s9, s3, s2
.LBB6_18:
	s_or_b32 exec_lo, exec_lo, s10
	s_delay_alu instid0(SALU_CYCLE_1)
	s_or_not1_b32 s2, s9, exec_lo
.LBB6_19:
	s_or_b32 exec_lo, exec_lo, s19
	s_delay_alu instid0(SALU_CYCLE_1) | instskip(SKIP_1) | instid1(SALU_CYCLE_1)
	s_and_not1_b32 s3, s17, exec_lo
	s_and_b32 s2, s2, exec_lo
	s_or_b32 s17, s3, s2
.LBB6_20:
	s_or_b32 exec_lo, exec_lo, s18
	s_delay_alu instid0(SALU_CYCLE_1) | instskip(SKIP_1) | instid1(SALU_CYCLE_1)
	s_and_not1_b32 s2, s8, exec_lo
	s_and_b32 s3, s17, exec_lo
	s_or_b32 s8, s2, s3
.LBB6_21:
	s_or_b32 exec_lo, exec_lo, s16
	s_delay_alu instid0(SALU_CYCLE_1) | instskip(SKIP_1) | instid1(SALU_CYCLE_1)
	s_and_not1_b32 s2, s4, exec_lo
	s_and_b32 s3, s8, exec_lo
	s_or_b32 s4, s2, s3
.LBB6_22:
	s_or_b32 exec_lo, exec_lo, s5
	s_delay_alu instid0(SALU_CYCLE_1)
	s_and_b32 exec_lo, exec_lo, s4
	s_cbranch_execz .LBB6_24
; %bb.23:
	s_load_b64 s[0:1], s[0:1], 0x40
	v_mov_b32_e32 v0, 0
	s_wait_kmcnt 0x0
	global_store_b32 v0, v12, s[0:1]
.LBB6_24:
	s_endpgm
	.section	.rodata,"a",@progbits
	.p2align	6, 0x0
	.amdhsa_kernel _ZN9rocsparseL23check_matrix_coo_deviceILj256E21rocsparse_complex_numIfEllEEvT2_S3_lPKT0_PKT1_PKS3_21rocsparse_index_base_22rocsparse_matrix_type_20rocsparse_fill_mode_23rocsparse_storage_mode_P22rocsparse_data_status_
		.amdhsa_group_segment_fixed_size 0
		.amdhsa_private_segment_fixed_size 0
		.amdhsa_kernarg_size 72
		.amdhsa_user_sgpr_count 2
		.amdhsa_user_sgpr_dispatch_ptr 0
		.amdhsa_user_sgpr_queue_ptr 0
		.amdhsa_user_sgpr_kernarg_segment_ptr 1
		.amdhsa_user_sgpr_dispatch_id 0
		.amdhsa_user_sgpr_kernarg_preload_length 0
		.amdhsa_user_sgpr_kernarg_preload_offset 0
		.amdhsa_user_sgpr_private_segment_size 0
		.amdhsa_wavefront_size32 1
		.amdhsa_uses_dynamic_stack 0
		.amdhsa_enable_private_segment 0
		.amdhsa_system_sgpr_workgroup_id_x 1
		.amdhsa_system_sgpr_workgroup_id_y 0
		.amdhsa_system_sgpr_workgroup_id_z 0
		.amdhsa_system_sgpr_workgroup_info 0
		.amdhsa_system_vgpr_workitem_id 0
		.amdhsa_next_free_vgpr 13
		.amdhsa_next_free_sgpr 21
		.amdhsa_named_barrier_count 0
		.amdhsa_reserve_vcc 1
		.amdhsa_float_round_mode_32 0
		.amdhsa_float_round_mode_16_64 0
		.amdhsa_float_denorm_mode_32 3
		.amdhsa_float_denorm_mode_16_64 3
		.amdhsa_fp16_overflow 0
		.amdhsa_memory_ordered 1
		.amdhsa_forward_progress 1
		.amdhsa_inst_pref_size 7
		.amdhsa_round_robin_scheduling 0
		.amdhsa_exception_fp_ieee_invalid_op 0
		.amdhsa_exception_fp_denorm_src 0
		.amdhsa_exception_fp_ieee_div_zero 0
		.amdhsa_exception_fp_ieee_overflow 0
		.amdhsa_exception_fp_ieee_underflow 0
		.amdhsa_exception_fp_ieee_inexact 0
		.amdhsa_exception_int_div_zero 0
	.end_amdhsa_kernel
	.section	.text._ZN9rocsparseL23check_matrix_coo_deviceILj256E21rocsparse_complex_numIfEllEEvT2_S3_lPKT0_PKT1_PKS3_21rocsparse_index_base_22rocsparse_matrix_type_20rocsparse_fill_mode_23rocsparse_storage_mode_P22rocsparse_data_status_,"axG",@progbits,_ZN9rocsparseL23check_matrix_coo_deviceILj256E21rocsparse_complex_numIfEllEEvT2_S3_lPKT0_PKT1_PKS3_21rocsparse_index_base_22rocsparse_matrix_type_20rocsparse_fill_mode_23rocsparse_storage_mode_P22rocsparse_data_status_,comdat
.Lfunc_end6:
	.size	_ZN9rocsparseL23check_matrix_coo_deviceILj256E21rocsparse_complex_numIfEllEEvT2_S3_lPKT0_PKT1_PKS3_21rocsparse_index_base_22rocsparse_matrix_type_20rocsparse_fill_mode_23rocsparse_storage_mode_P22rocsparse_data_status_, .Lfunc_end6-_ZN9rocsparseL23check_matrix_coo_deviceILj256E21rocsparse_complex_numIfEllEEvT2_S3_lPKT0_PKT1_PKS3_21rocsparse_index_base_22rocsparse_matrix_type_20rocsparse_fill_mode_23rocsparse_storage_mode_P22rocsparse_data_status_
                                        ; -- End function
	.set _ZN9rocsparseL23check_matrix_coo_deviceILj256E21rocsparse_complex_numIfEllEEvT2_S3_lPKT0_PKT1_PKS3_21rocsparse_index_base_22rocsparse_matrix_type_20rocsparse_fill_mode_23rocsparse_storage_mode_P22rocsparse_data_status_.num_vgpr, 13
	.set _ZN9rocsparseL23check_matrix_coo_deviceILj256E21rocsparse_complex_numIfEllEEvT2_S3_lPKT0_PKT1_PKS3_21rocsparse_index_base_22rocsparse_matrix_type_20rocsparse_fill_mode_23rocsparse_storage_mode_P22rocsparse_data_status_.num_agpr, 0
	.set _ZN9rocsparseL23check_matrix_coo_deviceILj256E21rocsparse_complex_numIfEllEEvT2_S3_lPKT0_PKT1_PKS3_21rocsparse_index_base_22rocsparse_matrix_type_20rocsparse_fill_mode_23rocsparse_storage_mode_P22rocsparse_data_status_.numbered_sgpr, 21
	.set _ZN9rocsparseL23check_matrix_coo_deviceILj256E21rocsparse_complex_numIfEllEEvT2_S3_lPKT0_PKT1_PKS3_21rocsparse_index_base_22rocsparse_matrix_type_20rocsparse_fill_mode_23rocsparse_storage_mode_P22rocsparse_data_status_.num_named_barrier, 0
	.set _ZN9rocsparseL23check_matrix_coo_deviceILj256E21rocsparse_complex_numIfEllEEvT2_S3_lPKT0_PKT1_PKS3_21rocsparse_index_base_22rocsparse_matrix_type_20rocsparse_fill_mode_23rocsparse_storage_mode_P22rocsparse_data_status_.private_seg_size, 0
	.set _ZN9rocsparseL23check_matrix_coo_deviceILj256E21rocsparse_complex_numIfEllEEvT2_S3_lPKT0_PKT1_PKS3_21rocsparse_index_base_22rocsparse_matrix_type_20rocsparse_fill_mode_23rocsparse_storage_mode_P22rocsparse_data_status_.uses_vcc, 1
	.set _ZN9rocsparseL23check_matrix_coo_deviceILj256E21rocsparse_complex_numIfEllEEvT2_S3_lPKT0_PKT1_PKS3_21rocsparse_index_base_22rocsparse_matrix_type_20rocsparse_fill_mode_23rocsparse_storage_mode_P22rocsparse_data_status_.uses_flat_scratch, 0
	.set _ZN9rocsparseL23check_matrix_coo_deviceILj256E21rocsparse_complex_numIfEllEEvT2_S3_lPKT0_PKT1_PKS3_21rocsparse_index_base_22rocsparse_matrix_type_20rocsparse_fill_mode_23rocsparse_storage_mode_P22rocsparse_data_status_.has_dyn_sized_stack, 0
	.set _ZN9rocsparseL23check_matrix_coo_deviceILj256E21rocsparse_complex_numIfEllEEvT2_S3_lPKT0_PKT1_PKS3_21rocsparse_index_base_22rocsparse_matrix_type_20rocsparse_fill_mode_23rocsparse_storage_mode_P22rocsparse_data_status_.has_recursion, 0
	.set _ZN9rocsparseL23check_matrix_coo_deviceILj256E21rocsparse_complex_numIfEllEEvT2_S3_lPKT0_PKT1_PKS3_21rocsparse_index_base_22rocsparse_matrix_type_20rocsparse_fill_mode_23rocsparse_storage_mode_P22rocsparse_data_status_.has_indirect_call, 0
	.section	.AMDGPU.csdata,"",@progbits
; Kernel info:
; codeLenInByte = 800
; TotalNumSgprs: 23
; NumVgprs: 13
; ScratchSize: 0
; MemoryBound: 0
; FloatMode: 240
; IeeeMode: 1
; LDSByteSize: 0 bytes/workgroup (compile time only)
; SGPRBlocks: 0
; VGPRBlocks: 0
; NumSGPRsForWavesPerEU: 23
; NumVGPRsForWavesPerEU: 13
; NamedBarCnt: 0
; Occupancy: 16
; WaveLimiterHint : 0
; COMPUTE_PGM_RSRC2:SCRATCH_EN: 0
; COMPUTE_PGM_RSRC2:USER_SGPR: 2
; COMPUTE_PGM_RSRC2:TRAP_HANDLER: 0
; COMPUTE_PGM_RSRC2:TGID_X_EN: 1
; COMPUTE_PGM_RSRC2:TGID_Y_EN: 0
; COMPUTE_PGM_RSRC2:TGID_Z_EN: 0
; COMPUTE_PGM_RSRC2:TIDIG_COMP_CNT: 0
	.section	.text._ZN9rocsparseL23check_matrix_coo_deviceILj256E21rocsparse_complex_numIdEllEEvT2_S3_lPKT0_PKT1_PKS3_21rocsparse_index_base_22rocsparse_matrix_type_20rocsparse_fill_mode_23rocsparse_storage_mode_P22rocsparse_data_status_,"axG",@progbits,_ZN9rocsparseL23check_matrix_coo_deviceILj256E21rocsparse_complex_numIdEllEEvT2_S3_lPKT0_PKT1_PKS3_21rocsparse_index_base_22rocsparse_matrix_type_20rocsparse_fill_mode_23rocsparse_storage_mode_P22rocsparse_data_status_,comdat
	.globl	_ZN9rocsparseL23check_matrix_coo_deviceILj256E21rocsparse_complex_numIdEllEEvT2_S3_lPKT0_PKT1_PKS3_21rocsparse_index_base_22rocsparse_matrix_type_20rocsparse_fill_mode_23rocsparse_storage_mode_P22rocsparse_data_status_ ; -- Begin function _ZN9rocsparseL23check_matrix_coo_deviceILj256E21rocsparse_complex_numIdEllEEvT2_S3_lPKT0_PKT1_PKS3_21rocsparse_index_base_22rocsparse_matrix_type_20rocsparse_fill_mode_23rocsparse_storage_mode_P22rocsparse_data_status_
	.p2align	8
	.type	_ZN9rocsparseL23check_matrix_coo_deviceILj256E21rocsparse_complex_numIdEllEEvT2_S3_lPKT0_PKT1_PKS3_21rocsparse_index_base_22rocsparse_matrix_type_20rocsparse_fill_mode_23rocsparse_storage_mode_P22rocsparse_data_status_,@function
_ZN9rocsparseL23check_matrix_coo_deviceILj256E21rocsparse_complex_numIdEllEEvT2_S3_lPKT0_PKT1_PKS3_21rocsparse_index_base_22rocsparse_matrix_type_20rocsparse_fill_mode_23rocsparse_storage_mode_P22rocsparse_data_status_: ; @_ZN9rocsparseL23check_matrix_coo_deviceILj256E21rocsparse_complex_numIdEllEEvT2_S3_lPKT0_PKT1_PKS3_21rocsparse_index_base_22rocsparse_matrix_type_20rocsparse_fill_mode_23rocsparse_storage_mode_P22rocsparse_data_status_
; %bb.0:
	s_load_b64 s[14:15], s[0:1], 0x10
	s_bfe_u32 s2, ttmp6, 0x4000c
	s_and_b32 s3, ttmp6, 15
	s_add_co_i32 s2, s2, 1
	s_getreg_b32 s4, hwreg(HW_REG_IB_STS2, 6, 4)
	s_mul_i32 s2, ttmp9, s2
	v_mov_b32_e32 v5, 0
	s_add_co_i32 s3, s3, s2
	s_cmp_eq_u32 s4, 0
	s_mov_b32 s13, 0
	s_cselect_b32 s2, ttmp9, s3
	s_delay_alu instid0(SALU_CYCLE_1) | instskip(SKIP_2) | instid1(VALU_DEP_1)
	v_lshl_or_b32 v4, s2, 8, v0
	s_mov_b32 s2, exec_lo
	s_wait_kmcnt 0x0
	v_cmpx_gt_i64_e64 s[14:15], v[4:5]
	s_cbranch_execz .LBB7_24
; %bb.1:
	s_load_b64 s[2:3], s[0:1], 0x20
	v_mov_b32_e32 v14, 4
	s_wait_kmcnt 0x0
	v_lshl_add_u64 v[6:7], v[4:5], 3, s[2:3]
	global_load_b64 v[8:9], v[6:7], off
	s_clause 0x1
	s_load_b128 s[8:11], s[0:1], 0x30
	s_load_b128 s[4:7], s[0:1], 0x0
	s_wait_kmcnt 0x0
	s_mov_b32 s12, s8
	s_wait_loadcnt 0x0
	v_sub_nc_u64_e64 v[0:1], v[8:9], s[12:13]
	s_delay_alu instid0(VALU_DEP_1) | instskip(SKIP_2) | instid1(SALU_CYCLE_1)
	v_cmp_lt_i64_e32 vcc_lo, -1, v[0:1]
	v_cmp_gt_i64_e64 s2, s[4:5], v[0:1]
	s_and_b32 s2, vcc_lo, s2
	s_xor_b32 s4, s2, -1
	s_and_saveexec_b32 s5, s2
	s_cbranch_execz .LBB7_22
; %bb.2:
	s_load_b64 s[2:3], s[0:1], 0x28
	v_mov_b32_e32 v14, 4
	s_wait_kmcnt 0x0
	v_lshl_add_u64 v[12:13], v[4:5], 3, s[2:3]
	global_load_b64 v[10:11], v[12:13], off
	s_wait_loadcnt 0x0
	v_sub_nc_u64_e64 v[0:1], v[10:11], s[12:13]
	s_delay_alu instid0(VALU_DEP_1) | instskip(SKIP_2) | instid1(SALU_CYCLE_1)
	v_cmp_lt_i64_e32 vcc_lo, -1, v[0:1]
	v_cmp_gt_i64_e64 s2, s[6:7], v[0:1]
	s_and_b32 s2, vcc_lo, s2
	s_xor_b32 s8, s2, -1
	s_and_saveexec_b32 s16, s2
	s_cbranch_execz .LBB7_21
; %bb.3:
	s_load_b64 s[2:3], s[0:1], 0x18
	v_mov_b32_e32 v14, 1
	s_wait_kmcnt 0x0
	v_lshl_add_u64 v[0:1], v[4:5], 4, s[2:3]
	global_load_b128 v[0:3], v[0:1], off
	s_wait_loadcnt 0x0
	v_cmp_eq_f64_e32 vcc_lo, 0x7ff00000, v[0:1]
	v_cmp_eq_f64_e64 s2, 0x7ff00000, v[2:3]
	s_or_b32 s17, vcc_lo, s2
	s_mov_b32 s2, -1
	s_xor_b32 s3, s17, -1
	s_delay_alu instid0(SALU_CYCLE_1)
	s_and_saveexec_b32 s18, s3
	s_cbranch_execz .LBB7_20
; %bb.4:
	v_mov_b32_e32 v14, 2
	s_mov_b32 s19, exec_lo
	v_cmpx_o_f64_e32 v[0:1], v[2:3]
	s_cbranch_execz .LBB7_19
; %bb.5:
	s_cmp_lg_u32 s9, 0
	s_mov_b32 s20, 0
	s_cbranch_scc0 .LBB7_8
; %bb.6:
	s_cmp_lg_u32 s10, 0
	s_mov_b32 s2, 0
	s_cbranch_scc0 .LBB7_9
; %bb.7:
	v_cmp_le_i64_e32 vcc_lo, v[8:9], v[10:11]
	s_mov_b32 s9, -1
	s_mov_b32 s3, 7
	s_and_b32 s20, vcc_lo, exec_lo
	s_branch .LBB7_10
.LBB7_8:
	s_mov_b32 s20, -1
	s_mov_b32 s9, 0
	s_mov_b32 s3, 2
	s_branch .LBB7_12
.LBB7_9:
	s_mov_b32 s2, -1
	s_mov_b32 s3, 2
	s_mov_b32 s9, 0
.LBB7_10:
	s_and_not1_b32 vcc_lo, exec_lo, s2
	s_cbranch_vccnz .LBB7_12
; %bb.11:
	v_cmp_lt_i64_e32 vcc_lo, v[8:9], v[10:11]
	v_cmp_ge_i64_e64 s2, v[8:9], v[10:11]
	s_and_not1_b32 s9, s9, exec_lo
	s_and_not1_b32 s10, s20, exec_lo
	s_mov_b32 s3, 7
	s_and_b32 s20, vcc_lo, exec_lo
	s_and_b32 s2, s2, exec_lo
	s_or_b32 s9, s9, s20
	s_or_b32 s20, s10, s2
.LBB7_12:
	v_mov_b32_e32 v14, s3
	s_and_saveexec_b32 s10, s20
	s_cbranch_execz .LBB7_18
; %bb.13:
	s_add_nc_u64 s[14:15], s[14:15], -1
	s_cmp_eq_u32 s11, 0
	v_cmp_gt_u64_e32 vcc_lo, s[14:15], v[4:5]
	v_mov_b32_e32 v14, s3
	s_cselect_b32 s11, -1, 0
	s_mov_b32 s2, 0
	s_and_b32 s14, s11, vcc_lo
	s_delay_alu instid0(SALU_CYCLE_1)
	s_and_saveexec_b32 s11, s14
	s_cbranch_execz .LBB7_17
; %bb.14:
	global_load_b64 v[0:1], v[6:7], off offset:8
	v_mov_b32_e32 v14, s3
	s_mov_b32 s14, exec_lo
	s_wait_loadcnt 0x0
	v_cmpx_eq_u64_e64 v[8:9], v[0:1]
	s_cbranch_execz .LBB7_16
; %bb.15:
	global_load_b64 v[0:1], v[12:13], off offset:8
	v_mov_b32_e32 v14, 6
	s_wait_loadcnt 0x0
	v_sub_nc_u64_e64 v[2:3], v[0:1], s[12:13]
	v_cmp_gt_i64_e64 s3, v[10:11], v[0:1]
	s_delay_alu instid0(VALU_DEP_2) | instskip(SKIP_2) | instid1(SALU_CYCLE_1)
	v_cmp_lt_i64_e32 vcc_lo, -1, v[2:3]
	v_cmp_gt_i64_e64 s2, s[6:7], v[2:3]
	s_and_b32 s2, vcc_lo, s2
	s_and_b32 s2, s3, s2
	s_delay_alu instid0(SALU_CYCLE_1)
	s_and_b32 s2, s2, exec_lo
.LBB7_16:
	s_or_b32 exec_lo, exec_lo, s14
	s_delay_alu instid0(SALU_CYCLE_1)
	s_and_b32 s2, s2, exec_lo
.LBB7_17:
	s_or_b32 exec_lo, exec_lo, s11
	s_delay_alu instid0(SALU_CYCLE_1) | instskip(SKIP_1) | instid1(SALU_CYCLE_1)
	s_and_not1_b32 s3, s9, exec_lo
	s_and_b32 s2, s2, exec_lo
	s_or_b32 s9, s3, s2
.LBB7_18:
	s_or_b32 exec_lo, exec_lo, s10
	s_delay_alu instid0(SALU_CYCLE_1)
	s_or_not1_b32 s2, s9, exec_lo
.LBB7_19:
	s_or_b32 exec_lo, exec_lo, s19
	s_delay_alu instid0(SALU_CYCLE_1) | instskip(SKIP_1) | instid1(SALU_CYCLE_1)
	s_and_not1_b32 s3, s17, exec_lo
	s_and_b32 s2, s2, exec_lo
	s_or_b32 s17, s3, s2
.LBB7_20:
	s_or_b32 exec_lo, exec_lo, s18
	s_delay_alu instid0(SALU_CYCLE_1) | instskip(SKIP_1) | instid1(SALU_CYCLE_1)
	s_and_not1_b32 s2, s8, exec_lo
	s_and_b32 s3, s17, exec_lo
	s_or_b32 s8, s2, s3
.LBB7_21:
	s_or_b32 exec_lo, exec_lo, s16
	s_delay_alu instid0(SALU_CYCLE_1) | instskip(SKIP_1) | instid1(SALU_CYCLE_1)
	s_and_not1_b32 s2, s4, exec_lo
	s_and_b32 s3, s8, exec_lo
	s_or_b32 s4, s2, s3
.LBB7_22:
	s_or_b32 exec_lo, exec_lo, s5
	s_delay_alu instid0(SALU_CYCLE_1)
	s_and_b32 exec_lo, exec_lo, s4
	s_cbranch_execz .LBB7_24
; %bb.23:
	s_load_b64 s[0:1], s[0:1], 0x40
	v_mov_b32_e32 v0, 0
	s_wait_kmcnt 0x0
	global_store_b32 v0, v14, s[0:1]
.LBB7_24:
	s_endpgm
	.section	.rodata,"a",@progbits
	.p2align	6, 0x0
	.amdhsa_kernel _ZN9rocsparseL23check_matrix_coo_deviceILj256E21rocsparse_complex_numIdEllEEvT2_S3_lPKT0_PKT1_PKS3_21rocsparse_index_base_22rocsparse_matrix_type_20rocsparse_fill_mode_23rocsparse_storage_mode_P22rocsparse_data_status_
		.amdhsa_group_segment_fixed_size 0
		.amdhsa_private_segment_fixed_size 0
		.amdhsa_kernarg_size 72
		.amdhsa_user_sgpr_count 2
		.amdhsa_user_sgpr_dispatch_ptr 0
		.amdhsa_user_sgpr_queue_ptr 0
		.amdhsa_user_sgpr_kernarg_segment_ptr 1
		.amdhsa_user_sgpr_dispatch_id 0
		.amdhsa_user_sgpr_kernarg_preload_length 0
		.amdhsa_user_sgpr_kernarg_preload_offset 0
		.amdhsa_user_sgpr_private_segment_size 0
		.amdhsa_wavefront_size32 1
		.amdhsa_uses_dynamic_stack 0
		.amdhsa_enable_private_segment 0
		.amdhsa_system_sgpr_workgroup_id_x 1
		.amdhsa_system_sgpr_workgroup_id_y 0
		.amdhsa_system_sgpr_workgroup_id_z 0
		.amdhsa_system_sgpr_workgroup_info 0
		.amdhsa_system_vgpr_workitem_id 0
		.amdhsa_next_free_vgpr 15
		.amdhsa_next_free_sgpr 21
		.amdhsa_named_barrier_count 0
		.amdhsa_reserve_vcc 1
		.amdhsa_float_round_mode_32 0
		.amdhsa_float_round_mode_16_64 0
		.amdhsa_float_denorm_mode_32 3
		.amdhsa_float_denorm_mode_16_64 3
		.amdhsa_fp16_overflow 0
		.amdhsa_memory_ordered 1
		.amdhsa_forward_progress 1
		.amdhsa_inst_pref_size 7
		.amdhsa_round_robin_scheduling 0
		.amdhsa_exception_fp_ieee_invalid_op 0
		.amdhsa_exception_fp_denorm_src 0
		.amdhsa_exception_fp_ieee_div_zero 0
		.amdhsa_exception_fp_ieee_overflow 0
		.amdhsa_exception_fp_ieee_underflow 0
		.amdhsa_exception_fp_ieee_inexact 0
		.amdhsa_exception_int_div_zero 0
	.end_amdhsa_kernel
	.section	.text._ZN9rocsparseL23check_matrix_coo_deviceILj256E21rocsparse_complex_numIdEllEEvT2_S3_lPKT0_PKT1_PKS3_21rocsparse_index_base_22rocsparse_matrix_type_20rocsparse_fill_mode_23rocsparse_storage_mode_P22rocsparse_data_status_,"axG",@progbits,_ZN9rocsparseL23check_matrix_coo_deviceILj256E21rocsparse_complex_numIdEllEEvT2_S3_lPKT0_PKT1_PKS3_21rocsparse_index_base_22rocsparse_matrix_type_20rocsparse_fill_mode_23rocsparse_storage_mode_P22rocsparse_data_status_,comdat
.Lfunc_end7:
	.size	_ZN9rocsparseL23check_matrix_coo_deviceILj256E21rocsparse_complex_numIdEllEEvT2_S3_lPKT0_PKT1_PKS3_21rocsparse_index_base_22rocsparse_matrix_type_20rocsparse_fill_mode_23rocsparse_storage_mode_P22rocsparse_data_status_, .Lfunc_end7-_ZN9rocsparseL23check_matrix_coo_deviceILj256E21rocsparse_complex_numIdEllEEvT2_S3_lPKT0_PKT1_PKS3_21rocsparse_index_base_22rocsparse_matrix_type_20rocsparse_fill_mode_23rocsparse_storage_mode_P22rocsparse_data_status_
                                        ; -- End function
	.set _ZN9rocsparseL23check_matrix_coo_deviceILj256E21rocsparse_complex_numIdEllEEvT2_S3_lPKT0_PKT1_PKS3_21rocsparse_index_base_22rocsparse_matrix_type_20rocsparse_fill_mode_23rocsparse_storage_mode_P22rocsparse_data_status_.num_vgpr, 15
	.set _ZN9rocsparseL23check_matrix_coo_deviceILj256E21rocsparse_complex_numIdEllEEvT2_S3_lPKT0_PKT1_PKS3_21rocsparse_index_base_22rocsparse_matrix_type_20rocsparse_fill_mode_23rocsparse_storage_mode_P22rocsparse_data_status_.num_agpr, 0
	.set _ZN9rocsparseL23check_matrix_coo_deviceILj256E21rocsparse_complex_numIdEllEEvT2_S3_lPKT0_PKT1_PKS3_21rocsparse_index_base_22rocsparse_matrix_type_20rocsparse_fill_mode_23rocsparse_storage_mode_P22rocsparse_data_status_.numbered_sgpr, 21
	.set _ZN9rocsparseL23check_matrix_coo_deviceILj256E21rocsparse_complex_numIdEllEEvT2_S3_lPKT0_PKT1_PKS3_21rocsparse_index_base_22rocsparse_matrix_type_20rocsparse_fill_mode_23rocsparse_storage_mode_P22rocsparse_data_status_.num_named_barrier, 0
	.set _ZN9rocsparseL23check_matrix_coo_deviceILj256E21rocsparse_complex_numIdEllEEvT2_S3_lPKT0_PKT1_PKS3_21rocsparse_index_base_22rocsparse_matrix_type_20rocsparse_fill_mode_23rocsparse_storage_mode_P22rocsparse_data_status_.private_seg_size, 0
	.set _ZN9rocsparseL23check_matrix_coo_deviceILj256E21rocsparse_complex_numIdEllEEvT2_S3_lPKT0_PKT1_PKS3_21rocsparse_index_base_22rocsparse_matrix_type_20rocsparse_fill_mode_23rocsparse_storage_mode_P22rocsparse_data_status_.uses_vcc, 1
	.set _ZN9rocsparseL23check_matrix_coo_deviceILj256E21rocsparse_complex_numIdEllEEvT2_S3_lPKT0_PKT1_PKS3_21rocsparse_index_base_22rocsparse_matrix_type_20rocsparse_fill_mode_23rocsparse_storage_mode_P22rocsparse_data_status_.uses_flat_scratch, 0
	.set _ZN9rocsparseL23check_matrix_coo_deviceILj256E21rocsparse_complex_numIdEllEEvT2_S3_lPKT0_PKT1_PKS3_21rocsparse_index_base_22rocsparse_matrix_type_20rocsparse_fill_mode_23rocsparse_storage_mode_P22rocsparse_data_status_.has_dyn_sized_stack, 0
	.set _ZN9rocsparseL23check_matrix_coo_deviceILj256E21rocsparse_complex_numIdEllEEvT2_S3_lPKT0_PKT1_PKS3_21rocsparse_index_base_22rocsparse_matrix_type_20rocsparse_fill_mode_23rocsparse_storage_mode_P22rocsparse_data_status_.has_recursion, 0
	.set _ZN9rocsparseL23check_matrix_coo_deviceILj256E21rocsparse_complex_numIdEllEEvT2_S3_lPKT0_PKT1_PKS3_21rocsparse_index_base_22rocsparse_matrix_type_20rocsparse_fill_mode_23rocsparse_storage_mode_P22rocsparse_data_status_.has_indirect_call, 0
	.section	.AMDGPU.csdata,"",@progbits
; Kernel info:
; codeLenInByte = 800
; TotalNumSgprs: 23
; NumVgprs: 15
; ScratchSize: 0
; MemoryBound: 0
; FloatMode: 240
; IeeeMode: 1
; LDSByteSize: 0 bytes/workgroup (compile time only)
; SGPRBlocks: 0
; VGPRBlocks: 0
; NumSGPRsForWavesPerEU: 23
; NumVGPRsForWavesPerEU: 15
; NamedBarCnt: 0
; Occupancy: 16
; WaveLimiterHint : 0
; COMPUTE_PGM_RSRC2:SCRATCH_EN: 0
; COMPUTE_PGM_RSRC2:USER_SGPR: 2
; COMPUTE_PGM_RSRC2:TRAP_HANDLER: 0
; COMPUTE_PGM_RSRC2:TGID_X_EN: 1
; COMPUTE_PGM_RSRC2:TGID_Y_EN: 0
; COMPUTE_PGM_RSRC2:TGID_Z_EN: 0
; COMPUTE_PGM_RSRC2:TIDIG_COMP_CNT: 0
	.section	.AMDGPU.gpr_maximums,"",@progbits
	.set amdgpu.max_num_vgpr, 0
	.set amdgpu.max_num_agpr, 0
	.set amdgpu.max_num_sgpr, 0
	.section	.AMDGPU.csdata,"",@progbits
	.type	__hip_cuid_e726516ccfdca767,@object ; @__hip_cuid_e726516ccfdca767
	.section	.bss,"aw",@nobits
	.globl	__hip_cuid_e726516ccfdca767
__hip_cuid_e726516ccfdca767:
	.byte	0                               ; 0x0
	.size	__hip_cuid_e726516ccfdca767, 1

	.ident	"AMD clang version 22.0.0git (https://github.com/RadeonOpenCompute/llvm-project roc-7.2.4 26084 f58b06dce1f9c15707c5f808fd002e18c2accf7e)"
	.section	".note.GNU-stack","",@progbits
	.addrsig
	.addrsig_sym __hip_cuid_e726516ccfdca767
	.amdgpu_metadata
---
amdhsa.kernels:
  - .args:
      - .offset:         0
        .size:           4
        .value_kind:     by_value
      - .offset:         4
        .size:           4
        .value_kind:     by_value
      - .offset:         8
        .size:           8
        .value_kind:     by_value
      - .actual_access:  read_only
        .address_space:  global
        .offset:         16
        .size:           8
        .value_kind:     global_buffer
      - .actual_access:  read_only
        .address_space:  global
        .offset:         24
        .size:           8
        .value_kind:     global_buffer
      - .actual_access:  read_only
        .address_space:  global
        .offset:         32
        .size:           8
        .value_kind:     global_buffer
      - .offset:         40
        .size:           4
        .value_kind:     by_value
      - .offset:         44
        .size:           4
        .value_kind:     by_value
      - .offset:         48
        .size:           4
        .value_kind:     by_value
      - .offset:         52
        .size:           4
        .value_kind:     by_value
      - .address_space:  global
        .offset:         56
        .size:           8
        .value_kind:     global_buffer
    .group_segment_fixed_size: 0
    .kernarg_segment_align: 8
    .kernarg_segment_size: 64
    .language:       OpenCL C
    .language_version:
      - 2
      - 0
    .max_flat_workgroup_size: 256
    .name:           _ZN9rocsparseL23check_matrix_coo_deviceILj256EfiiEEvT2_S1_lPKT0_PKT1_PKS1_21rocsparse_index_base_22rocsparse_matrix_type_20rocsparse_fill_mode_23rocsparse_storage_mode_P22rocsparse_data_status_
    .private_segment_fixed_size: 0
    .sgpr_count:     21
    .sgpr_spill_count: 0
    .symbol:         _ZN9rocsparseL23check_matrix_coo_deviceILj256EfiiEEvT2_S1_lPKT0_PKT1_PKS1_21rocsparse_index_base_22rocsparse_matrix_type_20rocsparse_fill_mode_23rocsparse_storage_mode_P22rocsparse_data_status_.kd
    .uniform_work_group_size: 1
    .uses_dynamic_stack: false
    .vgpr_count:     10
    .vgpr_spill_count: 0
    .wavefront_size: 32
  - .args:
      - .offset:         0
        .size:           4
        .value_kind:     by_value
      - .offset:         4
        .size:           4
        .value_kind:     by_value
      - .offset:         8
        .size:           8
        .value_kind:     by_value
      - .actual_access:  read_only
        .address_space:  global
        .offset:         16
        .size:           8
        .value_kind:     global_buffer
      - .actual_access:  read_only
        .address_space:  global
        .offset:         24
        .size:           8
        .value_kind:     global_buffer
      - .actual_access:  read_only
        .address_space:  global
        .offset:         32
        .size:           8
        .value_kind:     global_buffer
      - .offset:         40
        .size:           4
        .value_kind:     by_value
      - .offset:         44
        .size:           4
        .value_kind:     by_value
      - .offset:         48
        .size:           4
        .value_kind:     by_value
      - .offset:         52
        .size:           4
        .value_kind:     by_value
      - .address_space:  global
        .offset:         56
        .size:           8
        .value_kind:     global_buffer
    .group_segment_fixed_size: 0
    .kernarg_segment_align: 8
    .kernarg_segment_size: 64
    .language:       OpenCL C
    .language_version:
      - 2
      - 0
    .max_flat_workgroup_size: 256
    .name:           _ZN9rocsparseL23check_matrix_coo_deviceILj256EdiiEEvT2_S1_lPKT0_PKT1_PKS1_21rocsparse_index_base_22rocsparse_matrix_type_20rocsparse_fill_mode_23rocsparse_storage_mode_P22rocsparse_data_status_
    .private_segment_fixed_size: 0
    .sgpr_count:     21
    .sgpr_spill_count: 0
    .symbol:         _ZN9rocsparseL23check_matrix_coo_deviceILj256EdiiEEvT2_S1_lPKT0_PKT1_PKS1_21rocsparse_index_base_22rocsparse_matrix_type_20rocsparse_fill_mode_23rocsparse_storage_mode_P22rocsparse_data_status_.kd
    .uniform_work_group_size: 1
    .uses_dynamic_stack: false
    .vgpr_count:     11
    .vgpr_spill_count: 0
    .wavefront_size: 32
  - .args:
      - .offset:         0
        .size:           4
        .value_kind:     by_value
      - .offset:         4
        .size:           4
        .value_kind:     by_value
      - .offset:         8
        .size:           8
        .value_kind:     by_value
      - .actual_access:  read_only
        .address_space:  global
        .offset:         16
        .size:           8
        .value_kind:     global_buffer
      - .actual_access:  read_only
        .address_space:  global
        .offset:         24
        .size:           8
        .value_kind:     global_buffer
      - .actual_access:  read_only
        .address_space:  global
        .offset:         32
        .size:           8
        .value_kind:     global_buffer
      - .offset:         40
        .size:           4
        .value_kind:     by_value
      - .offset:         44
        .size:           4
        .value_kind:     by_value
      - .offset:         48
        .size:           4
        .value_kind:     by_value
      - .offset:         52
        .size:           4
        .value_kind:     by_value
      - .address_space:  global
        .offset:         56
        .size:           8
        .value_kind:     global_buffer
    .group_segment_fixed_size: 0
    .kernarg_segment_align: 8
    .kernarg_segment_size: 64
    .language:       OpenCL C
    .language_version:
      - 2
      - 0
    .max_flat_workgroup_size: 256
    .name:           _ZN9rocsparseL23check_matrix_coo_deviceILj256E21rocsparse_complex_numIfEiiEEvT2_S3_lPKT0_PKT1_PKS3_21rocsparse_index_base_22rocsparse_matrix_type_20rocsparse_fill_mode_23rocsparse_storage_mode_P22rocsparse_data_status_
    .private_segment_fixed_size: 0
    .sgpr_count:     21
    .sgpr_spill_count: 0
    .symbol:         _ZN9rocsparseL23check_matrix_coo_deviceILj256E21rocsparse_complex_numIfEiiEEvT2_S3_lPKT0_PKT1_PKS3_21rocsparse_index_base_22rocsparse_matrix_type_20rocsparse_fill_mode_23rocsparse_storage_mode_P22rocsparse_data_status_.kd
    .uniform_work_group_size: 1
    .uses_dynamic_stack: false
    .vgpr_count:     11
    .vgpr_spill_count: 0
    .wavefront_size: 32
  - .args:
      - .offset:         0
        .size:           4
        .value_kind:     by_value
      - .offset:         4
        .size:           4
        .value_kind:     by_value
      - .offset:         8
        .size:           8
        .value_kind:     by_value
      - .actual_access:  read_only
        .address_space:  global
        .offset:         16
        .size:           8
        .value_kind:     global_buffer
      - .actual_access:  read_only
        .address_space:  global
        .offset:         24
        .size:           8
        .value_kind:     global_buffer
      - .actual_access:  read_only
        .address_space:  global
        .offset:         32
        .size:           8
        .value_kind:     global_buffer
      - .offset:         40
        .size:           4
        .value_kind:     by_value
      - .offset:         44
        .size:           4
        .value_kind:     by_value
      - .offset:         48
        .size:           4
        .value_kind:     by_value
      - .offset:         52
        .size:           4
        .value_kind:     by_value
      - .address_space:  global
        .offset:         56
        .size:           8
        .value_kind:     global_buffer
    .group_segment_fixed_size: 0
    .kernarg_segment_align: 8
    .kernarg_segment_size: 64
    .language:       OpenCL C
    .language_version:
      - 2
      - 0
    .max_flat_workgroup_size: 256
    .name:           _ZN9rocsparseL23check_matrix_coo_deviceILj256E21rocsparse_complex_numIdEiiEEvT2_S3_lPKT0_PKT1_PKS3_21rocsparse_index_base_22rocsparse_matrix_type_20rocsparse_fill_mode_23rocsparse_storage_mode_P22rocsparse_data_status_
    .private_segment_fixed_size: 0
    .sgpr_count:     21
    .sgpr_spill_count: 0
    .symbol:         _ZN9rocsparseL23check_matrix_coo_deviceILj256E21rocsparse_complex_numIdEiiEEvT2_S3_lPKT0_PKT1_PKS3_21rocsparse_index_base_22rocsparse_matrix_type_20rocsparse_fill_mode_23rocsparse_storage_mode_P22rocsparse_data_status_.kd
    .uniform_work_group_size: 1
    .uses_dynamic_stack: false
    .vgpr_count:     13
    .vgpr_spill_count: 0
    .wavefront_size: 32
  - .args:
      - .offset:         0
        .size:           8
        .value_kind:     by_value
      - .offset:         8
        .size:           8
        .value_kind:     by_value
      - .offset:         16
        .size:           8
        .value_kind:     by_value
      - .actual_access:  read_only
        .address_space:  global
        .offset:         24
        .size:           8
        .value_kind:     global_buffer
      - .actual_access:  read_only
        .address_space:  global
        .offset:         32
        .size:           8
        .value_kind:     global_buffer
      - .actual_access:  read_only
        .address_space:  global
        .offset:         40
        .size:           8
        .value_kind:     global_buffer
      - .offset:         48
        .size:           4
        .value_kind:     by_value
      - .offset:         52
        .size:           4
        .value_kind:     by_value
      - .offset:         56
        .size:           4
        .value_kind:     by_value
      - .offset:         60
        .size:           4
        .value_kind:     by_value
      - .address_space:  global
        .offset:         64
        .size:           8
        .value_kind:     global_buffer
    .group_segment_fixed_size: 0
    .kernarg_segment_align: 8
    .kernarg_segment_size: 72
    .language:       OpenCL C
    .language_version:
      - 2
      - 0
    .max_flat_workgroup_size: 256
    .name:           _ZN9rocsparseL23check_matrix_coo_deviceILj256EfllEEvT2_S1_lPKT0_PKT1_PKS1_21rocsparse_index_base_22rocsparse_matrix_type_20rocsparse_fill_mode_23rocsparse_storage_mode_P22rocsparse_data_status_
    .private_segment_fixed_size: 0
    .sgpr_count:     23
    .sgpr_spill_count: 0
    .symbol:         _ZN9rocsparseL23check_matrix_coo_deviceILj256EfllEEvT2_S1_lPKT0_PKT1_PKS1_21rocsparse_index_base_22rocsparse_matrix_type_20rocsparse_fill_mode_23rocsparse_storage_mode_P22rocsparse_data_status_.kd
    .uniform_work_group_size: 1
    .uses_dynamic_stack: false
    .vgpr_count:     12
    .vgpr_spill_count: 0
    .wavefront_size: 32
  - .args:
      - .offset:         0
        .size:           8
        .value_kind:     by_value
      - .offset:         8
        .size:           8
        .value_kind:     by_value
      - .offset:         16
        .size:           8
        .value_kind:     by_value
      - .actual_access:  read_only
        .address_space:  global
        .offset:         24
        .size:           8
        .value_kind:     global_buffer
      - .actual_access:  read_only
        .address_space:  global
        .offset:         32
        .size:           8
        .value_kind:     global_buffer
      - .actual_access:  read_only
        .address_space:  global
        .offset:         40
        .size:           8
        .value_kind:     global_buffer
      - .offset:         48
        .size:           4
        .value_kind:     by_value
      - .offset:         52
        .size:           4
        .value_kind:     by_value
      - .offset:         56
        .size:           4
        .value_kind:     by_value
      - .offset:         60
        .size:           4
        .value_kind:     by_value
      - .address_space:  global
        .offset:         64
        .size:           8
        .value_kind:     global_buffer
    .group_segment_fixed_size: 0
    .kernarg_segment_align: 8
    .kernarg_segment_size: 72
    .language:       OpenCL C
    .language_version:
      - 2
      - 0
    .max_flat_workgroup_size: 256
    .name:           _ZN9rocsparseL23check_matrix_coo_deviceILj256EdllEEvT2_S1_lPKT0_PKT1_PKS1_21rocsparse_index_base_22rocsparse_matrix_type_20rocsparse_fill_mode_23rocsparse_storage_mode_P22rocsparse_data_status_
    .private_segment_fixed_size: 0
    .sgpr_count:     23
    .sgpr_spill_count: 0
    .symbol:         _ZN9rocsparseL23check_matrix_coo_deviceILj256EdllEEvT2_S1_lPKT0_PKT1_PKS1_21rocsparse_index_base_22rocsparse_matrix_type_20rocsparse_fill_mode_23rocsparse_storage_mode_P22rocsparse_data_status_.kd
    .uniform_work_group_size: 1
    .uses_dynamic_stack: false
    .vgpr_count:     13
    .vgpr_spill_count: 0
    .wavefront_size: 32
  - .args:
      - .offset:         0
        .size:           8
        .value_kind:     by_value
      - .offset:         8
        .size:           8
        .value_kind:     by_value
      - .offset:         16
        .size:           8
        .value_kind:     by_value
      - .actual_access:  read_only
        .address_space:  global
        .offset:         24
        .size:           8
        .value_kind:     global_buffer
      - .actual_access:  read_only
        .address_space:  global
        .offset:         32
        .size:           8
        .value_kind:     global_buffer
      - .actual_access:  read_only
        .address_space:  global
        .offset:         40
        .size:           8
        .value_kind:     global_buffer
      - .offset:         48
        .size:           4
        .value_kind:     by_value
      - .offset:         52
        .size:           4
        .value_kind:     by_value
      - .offset:         56
        .size:           4
        .value_kind:     by_value
      - .offset:         60
        .size:           4
        .value_kind:     by_value
      - .address_space:  global
        .offset:         64
        .size:           8
        .value_kind:     global_buffer
    .group_segment_fixed_size: 0
    .kernarg_segment_align: 8
    .kernarg_segment_size: 72
    .language:       OpenCL C
    .language_version:
      - 2
      - 0
    .max_flat_workgroup_size: 256
    .name:           _ZN9rocsparseL23check_matrix_coo_deviceILj256E21rocsparse_complex_numIfEllEEvT2_S3_lPKT0_PKT1_PKS3_21rocsparse_index_base_22rocsparse_matrix_type_20rocsparse_fill_mode_23rocsparse_storage_mode_P22rocsparse_data_status_
    .private_segment_fixed_size: 0
    .sgpr_count:     23
    .sgpr_spill_count: 0
    .symbol:         _ZN9rocsparseL23check_matrix_coo_deviceILj256E21rocsparse_complex_numIfEllEEvT2_S3_lPKT0_PKT1_PKS3_21rocsparse_index_base_22rocsparse_matrix_type_20rocsparse_fill_mode_23rocsparse_storage_mode_P22rocsparse_data_status_.kd
    .uniform_work_group_size: 1
    .uses_dynamic_stack: false
    .vgpr_count:     13
    .vgpr_spill_count: 0
    .wavefront_size: 32
  - .args:
      - .offset:         0
        .size:           8
        .value_kind:     by_value
      - .offset:         8
        .size:           8
        .value_kind:     by_value
      - .offset:         16
        .size:           8
        .value_kind:     by_value
      - .actual_access:  read_only
        .address_space:  global
        .offset:         24
        .size:           8
        .value_kind:     global_buffer
      - .actual_access:  read_only
        .address_space:  global
        .offset:         32
        .size:           8
        .value_kind:     global_buffer
      - .actual_access:  read_only
        .address_space:  global
        .offset:         40
        .size:           8
        .value_kind:     global_buffer
      - .offset:         48
        .size:           4
        .value_kind:     by_value
      - .offset:         52
        .size:           4
        .value_kind:     by_value
      - .offset:         56
        .size:           4
        .value_kind:     by_value
      - .offset:         60
        .size:           4
        .value_kind:     by_value
      - .address_space:  global
        .offset:         64
        .size:           8
        .value_kind:     global_buffer
    .group_segment_fixed_size: 0
    .kernarg_segment_align: 8
    .kernarg_segment_size: 72
    .language:       OpenCL C
    .language_version:
      - 2
      - 0
    .max_flat_workgroup_size: 256
    .name:           _ZN9rocsparseL23check_matrix_coo_deviceILj256E21rocsparse_complex_numIdEllEEvT2_S3_lPKT0_PKT1_PKS3_21rocsparse_index_base_22rocsparse_matrix_type_20rocsparse_fill_mode_23rocsparse_storage_mode_P22rocsparse_data_status_
    .private_segment_fixed_size: 0
    .sgpr_count:     23
    .sgpr_spill_count: 0
    .symbol:         _ZN9rocsparseL23check_matrix_coo_deviceILj256E21rocsparse_complex_numIdEllEEvT2_S3_lPKT0_PKT1_PKS3_21rocsparse_index_base_22rocsparse_matrix_type_20rocsparse_fill_mode_23rocsparse_storage_mode_P22rocsparse_data_status_.kd
    .uniform_work_group_size: 1
    .uses_dynamic_stack: false
    .vgpr_count:     15
    .vgpr_spill_count: 0
    .wavefront_size: 32
amdhsa.target:   amdgcn-amd-amdhsa--gfx1250
amdhsa.version:
  - 1
  - 2
...

	.end_amdgpu_metadata
